;; amdgpu-corpus repo=ROCm/rocFFT kind=compiled arch=gfx1201 opt=O3
	.text
	.amdgcn_target "amdgcn-amd-amdhsa--gfx1201"
	.amdhsa_code_object_version 6
	.protected	bluestein_single_back_len1400_dim1_half_op_CI_CI ; -- Begin function bluestein_single_back_len1400_dim1_half_op_CI_CI
	.globl	bluestein_single_back_len1400_dim1_half_op_CI_CI
	.p2align	8
	.type	bluestein_single_back_len1400_dim1_half_op_CI_CI,@function
bluestein_single_back_len1400_dim1_half_op_CI_CI: ; @bluestein_single_back_len1400_dim1_half_op_CI_CI
; %bb.0:
	s_load_b128 s[12:15], s[0:1], 0x28
	v_mul_u32_u24_e32 v1, 0x493, v0
	s_mov_b32 s2, exec_lo
	v_mov_b32_e32 v43, 0
	s_delay_alu instid0(VALU_DEP_2) | instskip(NEXT) | instid1(VALU_DEP_1)
	v_lshrrev_b32_e32 v1, 16, v1
	v_add_nc_u32_e32 v42, ttmp9, v1
	s_wait_kmcnt 0x0
	s_delay_alu instid0(VALU_DEP_1)
	v_cmpx_gt_u64_e64 s[12:13], v[42:43]
	s_cbranch_execz .LBB0_39
; %bb.1:
	s_clause 0x1
	s_load_b128 s[4:7], s[0:1], 0x18
	s_load_b64 s[12:13], s[0:1], 0x0
	v_mul_lo_u16 v1, v1, 56
	s_movk_i32 s2, 0xfd7c
	s_mov_b32 s3, -1
	s_delay_alu instid0(VALU_DEP_1) | instskip(NEXT) | instid1(VALU_DEP_1)
	v_sub_nc_u16 v2, v0, v1
	v_and_b32_e32 v117, 0xffff, v2
	s_delay_alu instid0(VALU_DEP_1)
	v_or_b32_e32 v87, 0x1c0, v117
	s_wait_kmcnt 0x0
	s_load_b128 s[8:11], s[4:5], 0x0
	s_wait_kmcnt 0x0
	v_mad_co_u64_u32 v[0:1], null, s10, v42, 0
	v_mad_co_u64_u32 v[3:4], null, s8, v117, 0
	;; [unrolled: 1-line block ×3, first 2 shown]
	s_mul_u64 s[4:5], s[8:9], 0x2bc
	s_mul_u64 s[2:3], s[8:9], s[2:3]
	s_delay_alu instid0(VALU_DEP_3) | instskip(SKIP_2) | instid1(VALU_DEP_2)
	v_mad_co_u64_u32 v[7:8], null, s11, v42, v[1:2]
	s_lshl_b64 s[10:11], s[4:5], 2
	s_lshl_b64 s[2:3], s[2:3], 2
	v_mad_co_u64_u32 v[8:9], null, s9, v117, v[4:5]
	s_delay_alu instid0(VALU_DEP_3) | instskip(NEXT) | instid1(VALU_DEP_3)
	v_dual_mov_b32 v4, v6 :: v_dual_lshlrev_b32 v77, 2, v117
	v_mov_b32_e32 v1, v7
	s_delay_alu instid0(VALU_DEP_2) | instskip(NEXT) | instid1(VALU_DEP_4)
	v_mad_co_u64_u32 v[6:7], null, s9, v87, v[4:5]
	v_mov_b32_e32 v4, v8
	s_delay_alu instid0(VALU_DEP_3)
	v_lshlrev_b64_e32 v[0:1], 2, v[0:1]
	s_clause 0xd
	global_load_b32 v119, v77, s[12:13] offset:3024
	global_load_b32 v114, v77, s[12:13] offset:3248
	;; [unrolled: 1-line block ×3, first 2 shown]
	global_load_b32 v125, v77, s[12:13]
	global_load_b32 v121, v77, s[12:13] offset:224
	global_load_b32 v116, v77, s[12:13] offset:448
	;; [unrolled: 1-line block ×10, first 2 shown]
	v_lshlrev_b64_e32 v[3:4], 2, v[3:4]
	s_clause 0x1
	global_load_b32 v124, v77, s[12:13] offset:2800
	global_load_b32 v79, v77, s[12:13] offset:2464
	v_add_co_u32 v7, vcc_lo, s14, v0
	v_add_co_ci_u32_e32 v8, vcc_lo, s15, v1, vcc_lo
	v_lshlrev_b64_e32 v[0:1], 2, v[5:6]
	s_delay_alu instid0(VALU_DEP_3) | instskip(SKIP_1) | instid1(VALU_DEP_3)
	v_add_co_u32 v3, vcc_lo, v7, v3
	s_wait_alu 0xfffd
	v_add_co_ci_u32_e32 v4, vcc_lo, v8, v4, vcc_lo
	s_clause 0x7
	global_load_b32 v107, v77, s[12:13] offset:3696
	global_load_b32 v103, v77, s[12:13] offset:3920
	;; [unrolled: 1-line block ×8, first 2 shown]
	v_add_co_u32 v0, vcc_lo, v7, v0
	s_wait_alu 0xfffd
	v_add_co_ci_u32_e32 v1, vcc_lo, v8, v1, vcc_lo
	s_wait_alu 0xfffe
	v_add_co_u32 v5, vcc_lo, v3, s10
	s_wait_alu 0xfffd
	v_add_co_ci_u32_e32 v6, vcc_lo, s11, v4, vcc_lo
	s_clause 0x2
	global_load_b32 v11, v[3:4], off
	global_load_b32 v12, v[0:1], off
	;; [unrolled: 1-line block ×3, first 2 shown]
	v_add_co_u32 v0, vcc_lo, v5, s2
	s_wait_alu 0xfffd
	v_add_co_ci_u32_e32 v1, vcc_lo, s3, v6, vcc_lo
	v_add_nc_u32_e32 v31, 0xa00, v77
	s_delay_alu instid0(VALU_DEP_3) | instskip(SKIP_1) | instid1(VALU_DEP_3)
	v_add_co_u32 v3, vcc_lo, v0, s10
	s_wait_alu 0xfffd
	v_add_co_ci_u32_e32 v4, vcc_lo, s11, v1, vcc_lo
	global_load_b32 v14, v[0:1], off
	v_add_nc_u32_e32 v32, 0xe00, v77
	v_add_nc_u32_e32 v18, 0x1000, v77
	global_load_b32 v15, v[3:4], off
	v_add_co_u32 v0, vcc_lo, v3, s2
	s_wait_alu 0xfffd
	v_add_co_ci_u32_e32 v1, vcc_lo, s3, v4, vcc_lo
	v_add_co_u32 v40, s14, s12, v77
	s_delay_alu instid0(VALU_DEP_3) | instskip(SKIP_1) | instid1(VALU_DEP_3)
	v_add_co_u32 v3, vcc_lo, v0, s10
	s_wait_alu 0xfffd
	v_add_co_ci_u32_e32 v4, vcc_lo, s11, v1, vcc_lo
	global_load_b32 v16, v[0:1], off
	v_add_co_u32 v5, vcc_lo, v3, s2
	s_wait_alu 0xfffd
	v_add_co_ci_u32_e32 v6, vcc_lo, s3, v4, vcc_lo
	global_load_b32 v17, v[3:4], off
	v_add_co_u32 v0, vcc_lo, v5, s10
	s_wait_alu 0xfffd
	v_add_co_ci_u32_e32 v1, vcc_lo, s11, v6, vcc_lo
	global_load_b32 v19, v[5:6], off
	v_add_co_u32 v3, vcc_lo, v0, s2
	s_wait_alu 0xfffd
	v_add_co_ci_u32_e32 v4, vcc_lo, s3, v1, vcc_lo
	global_load_b32 v20, v[0:1], off
	v_add_co_u32 v5, vcc_lo, v3, s10
	s_wait_alu 0xfffd
	v_add_co_ci_u32_e32 v6, vcc_lo, s11, v4, vcc_lo
	global_load_b32 v21, v[3:4], off
	v_add_co_u32 v0, vcc_lo, v5, s2
	s_wait_alu 0xfffd
	v_add_co_ci_u32_e32 v1, vcc_lo, s3, v6, vcc_lo
	global_load_b32 v22, v[5:6], off
	v_add_co_u32 v7, vcc_lo, v0, s10
	s_wait_alu 0xfffd
	v_add_co_ci_u32_e32 v8, vcc_lo, s11, v1, vcc_lo
	global_load_b32 v23, v[0:1], off
	v_add_co_u32 v3, vcc_lo, v7, s2
	s_wait_alu 0xfffd
	v_add_co_ci_u32_e32 v4, vcc_lo, s3, v8, vcc_lo
	global_load_b32 v24, v[7:8], off
	v_add_co_u32 v5, vcc_lo, v3, s10
	s_wait_alu 0xfffd
	v_add_co_ci_u32_e32 v6, vcc_lo, s11, v4, vcc_lo
	global_load_b32 v25, v[3:4], off
	v_add_co_u32 v0, vcc_lo, v5, s2
	s_wait_alu 0xfffd
	v_add_co_ci_u32_e32 v1, vcc_lo, s3, v6, vcc_lo
	global_load_b32 v26, v[5:6], off
	v_add_co_u32 v9, vcc_lo, v0, s10
	s_wait_alu 0xfffd
	v_add_co_ci_u32_e32 v10, vcc_lo, s11, v1, vcc_lo
	global_load_b32 v27, v[0:1], off
	s_wait_alu 0xf1ff
	v_add_co_ci_u32_e64 v41, null, s13, 0, s14
	v_mad_co_u64_u32 v[7:8], null, 0xe0, s8, v[9:10]
	s_delay_alu instid0(VALU_DEP_1) | instskip(NEXT) | instid1(VALU_DEP_2)
	v_mov_b32_e32 v3, v8
	v_add_co_u32 v0, vcc_lo, v7, s2
	s_delay_alu instid0(VALU_DEP_2) | instskip(NEXT) | instid1(VALU_DEP_1)
	v_mad_co_u64_u32 v[3:4], null, 0xe0, s9, v[3:4]
	v_mov_b32_e32 v8, v3
	global_load_b32 v9, v[9:10], off
	global_load_b32 v10, v[7:8], off
	s_wait_alu 0xfffd
	v_add_co_ci_u32_e32 v1, vcc_lo, s3, v8, vcc_lo
	v_add_co_u32 v3, vcc_lo, v0, s10
	s_wait_alu 0xfffd
	s_delay_alu instid0(VALU_DEP_2)
	v_add_co_ci_u32_e32 v4, vcc_lo, s11, v1, vcc_lo
	global_load_b32 v7, v[0:1], off
	v_add_co_u32 v0, vcc_lo, v3, s2
	s_wait_alu 0xfffd
	v_add_co_ci_u32_e32 v1, vcc_lo, s3, v4, vcc_lo
	global_load_b32 v8, v[3:4], off
	v_add_co_u32 v3, vcc_lo, v0, s10
	s_wait_alu 0xfffd
	;; [unrolled: 4-line block ×3, first 2 shown]
	v_add_co_ci_u32_e32 v6, vcc_lo, s3, v4, vcc_lo
	s_delay_alu instid0(VALU_DEP_2) | instskip(SKIP_1) | instid1(VALU_DEP_2)
	v_add_co_u32 v0, vcc_lo, v5, s10
	s_wait_alu 0xfffd
	v_add_co_ci_u32_e32 v1, vcc_lo, s11, v6, vcc_lo
	global_load_b32 v29, v[3:4], off
	global_load_b32 v6, v[5:6], off
	;; [unrolled: 1-line block ×3, first 2 shown]
	v_add_nc_u32_e32 v4, 0xc00, v77
	s_load_b64 s[8:9], s[0:1], 0x38
	s_load_b128 s[4:7], s[6:7], 0x0
	v_add_nc_u32_e32 v5, 0x200, v77
	v_add_nc_u32_e32 v3, 0x400, v77
	v_cmp_gt_u16_e32 vcc_lo, 28, v2
	s_wait_loadcnt 0x2c
	v_lshrrev_b32_e32 v127, 16, v125
	s_wait_loadcnt 0x2b
	v_lshrrev_b32_e32 v123, 16, v121
	s_wait_loadcnt 0x2a
	v_lshrrev_b32_e32 v120, 16, v116
	s_wait_loadcnt 0x29
	v_lshrrev_b32_e32 v115, 16, v112
	v_lshrrev_b32_e32 v122, 16, v119
	v_lshrrev_b32_e32 v118, 16, v114
	s_wait_loadcnt 0x24
	v_lshrrev_b32_e32 v39, 16, v92
	v_lshrrev_b32_e32 v113, 16, v110
	;; [unrolled: 1-line block ×3, first 2 shown]
	s_wait_loadcnt 0x21
	v_lshrrev_b32_e32 v126, 16, v124
	v_lshrrev_b32_e32 v106, 16, v104
	;; [unrolled: 1-line block ×4, first 2 shown]
	s_wait_loadcnt 0x1f
	v_lshrrev_b32_e32 v109, 16, v107
	s_wait_loadcnt 0x1e
	v_lshrrev_b32_e32 v105, 16, v103
	;; [unrolled: 2-line block ×5, first 2 shown]
	v_lshrrev_b32_e32 v48, 16, v88
	s_wait_loadcnt 0x1a
	v_lshrrev_b32_e32 v47, 16, v86
	v_lshrrev_b32_e32 v46, 16, v83
	s_wait_loadcnt 0x19
	v_lshrrev_b32_e32 v45, 16, v82
	v_lshrrev_b32_e32 v44, 16, v79
	s_wait_loadcnt 0x18
	v_lshrrev_b32_e32 v43, 16, v78
	s_wait_loadcnt 0x17
	v_lshrrev_b32_e32 v33, 16, v11
	v_mul_f16_e32 v34, v127, v11
	s_wait_loadcnt 0x16
	v_lshrrev_b32_e32 v35, 16, v12
	v_mul_f16_e32 v36, v39, v12
	s_wait_loadcnt 0x15
	v_mul_f16_e32 v38, v126, v13
	v_mul_f16_e32 v37, v127, v33
	v_fma_f16 v33, v125, v33, -v34
	v_lshrrev_b32_e32 v34, 16, v13
	v_mul_f16_e32 v39, v39, v35
	v_fma_f16 v35, v92, v35, -v36
	v_fmac_f16_e32 v37, v125, v11
	s_delay_alu instid0(VALU_DEP_4)
	v_mul_f16_e32 v11, v126, v34
	v_fma_f16 v34, v124, v34, -v38
	s_wait_loadcnt 0x14
	v_lshrrev_b32_e32 v36, 16, v14
	v_mul_f16_e32 v38, v123, v14
	v_fmac_f16_e32 v39, v92, v12
	v_pack_b32_f16 v12, v37, v33
	v_fmac_f16_e32 v11, v124, v13
	v_mul_f16_e32 v13, v123, v36
	v_fma_f16 v33, v121, v36, -v38
	s_wait_loadcnt 0x13
	v_lshrrev_b32_e32 v36, 16, v15
	v_mul_f16_e32 v37, v122, v15
	v_pack_b32_f16 v11, v11, v34
	v_fmac_f16_e32 v13, v121, v14
	v_pack_b32_f16 v35, v39, v35
	v_mul_f16_e32 v14, v122, v36
	v_fma_f16 v34, v119, v36, -v37
	s_wait_loadcnt 0x12
	v_lshrrev_b32_e32 v36, 16, v16
	v_mul_f16_e32 v37, v120, v16
	ds_store_b32 v77, v11 offset:2800
	v_pack_b32_f16 v11, v13, v33
	v_fmac_f16_e32 v14, v119, v15
	v_mul_f16_e32 v13, v120, v36
	s_wait_loadcnt 0x11
	v_lshrrev_b32_e32 v33, 16, v17
	v_fma_f16 v15, v116, v36, -v37
	v_mul_f16_e32 v36, v118, v17
	ds_store_2addr_b32 v77, v12, v11 offset1:56
	v_pack_b32_f16 v11, v14, v34
	v_fmac_f16_e32 v13, v116, v16
	v_mul_f16_e32 v12, v118, v33
	s_wait_loadcnt 0x10
	v_lshrrev_b32_e32 v14, 16, v19
	v_fma_f16 v16, v114, v33, -v36
	v_mul_f16_e32 v33, v115, v19
	v_pack_b32_f16 v13, v13, v15
	v_fmac_f16_e32 v12, v114, v17
	v_mul_f16_e32 v15, v115, v14
	s_wait_loadcnt 0xf
	v_lshrrev_b32_e32 v17, 16, v20
	v_mul_f16_e32 v34, v113, v20
	v_fma_f16 v14, v112, v14, -v33
	v_pack_b32_f16 v12, v12, v16
	v_fmac_f16_e32 v15, v112, v19
	v_mul_f16_e32 v16, v113, v17
	s_wait_loadcnt 0xe
	v_lshrrev_b32_e32 v19, 16, v21
	v_fma_f16 v17, v110, v17, -v34
	v_mul_f16_e32 v33, v111, v21
	ds_store_2addr_b32 v31, v11, v12 offset0:116 offset1:172
	v_pack_b32_f16 v11, v15, v14
	v_fmac_f16_e32 v16, v110, v20
	v_mul_f16_e32 v12, v111, v19
	s_wait_loadcnt 0xd
	v_lshrrev_b32_e32 v15, 16, v22
	v_fma_f16 v14, v108, v19, -v33
	v_mul_f16_e32 v19, v109, v22
	ds_store_2addr_b32 v77, v13, v11 offset0:112 offset1:168
	v_pack_b32_f16 v11, v16, v17
	v_fmac_f16_e32 v12, v108, v21
	v_mul_f16_e32 v13, v109, v15
	s_wait_loadcnt 0xc
	v_lshrrev_b32_e32 v16, 16, v23
	v_fma_f16 v15, v107, v15, -v19
	v_mul_f16_e32 v17, v106, v23
	v_pack_b32_f16 v12, v12, v14
	v_fmac_f16_e32 v13, v107, v22
	v_mul_f16_e32 v14, v106, v16
	s_wait_loadcnt 0xb
	v_lshrrev_b32_e32 v19, 16, v24
	v_mul_f16_e32 v20, v105, v24
	v_fma_f16 v16, v104, v16, -v17
	v_pack_b32_f16 v13, v13, v15
	v_fmac_f16_e32 v14, v104, v23
	v_mul_f16_e32 v15, v105, v19
	v_fma_f16 v17, v103, v19, -v20
	s_wait_loadcnt 0xa
	v_lshrrev_b32_e32 v19, 16, v25
	v_mul_f16_e32 v20, v53, v25
	ds_store_2addr_b32 v4, v11, v13 offset0:100 offset1:156
	v_pack_b32_f16 v11, v14, v16
	v_fmac_f16_e32 v15, v103, v24
	v_mul_f16_e32 v13, v53, v19
	v_fma_f16 v14, v100, v19, -v20
	s_wait_loadcnt 0x9
	v_lshrrev_b32_e32 v16, 16, v26
	v_mul_f16_e32 v19, v52, v26
	ds_store_2addr_b32 v5, v12, v11 offset0:96 offset1:152
	s_wait_loadcnt 0x8
	v_lshrrev_b32_e32 v12, 16, v27
	v_pack_b32_f16 v11, v15, v17
	v_mul_f16_e32 v15, v52, v16
	v_mul_f16_e32 v17, v51, v27
	v_fma_f16 v16, v99, v16, -v19
	v_mul_f16_e32 v19, v51, v12
	v_fmac_f16_e32 v13, v100, v25
	v_fmac_f16_e32 v15, v99, v26
	v_fma_f16 v12, v96, v12, -v17
	s_delay_alu instid0(VALU_DEP_4) | instskip(NEXT) | instid1(VALU_DEP_4)
	v_fmac_f16_e32 v19, v96, v27
	v_pack_b32_f16 v13, v13, v14
	s_delay_alu instid0(VALU_DEP_4)
	v_pack_b32_f16 v14, v15, v16
	s_wait_loadcnt 0x7
	v_lshrrev_b32_e32 v17, 16, v9
	v_mul_f16_e32 v20, v50, v9
	v_pack_b32_f16 v12, v19, v12
	ds_store_2addr_b32 v32, v11, v14 offset0:84 offset1:140
	v_mul_f16_e32 v15, v50, v17
	v_fma_f16 v16, v95, v17, -v20
	s_wait_loadcnt 0x6
	v_lshrrev_b32_e32 v17, 16, v10
	ds_store_2addr_b32 v3, v13, v12 offset0:80 offset1:136
	s_wait_loadcnt 0x5
	v_lshrrev_b32_e32 v12, 16, v7
	v_fmac_f16_e32 v15, v95, v9
	v_mul_f16_e32 v9, v49, v10
	v_mul_f16_e32 v11, v49, v17
	;; [unrolled: 1-line block ×3, first 2 shown]
	v_add_nc_u32_e32 v20, 0x800, v77
	v_pack_b32_f16 v13, v15, v16
	s_wait_loadcnt 0x4
	v_lshrrev_b32_e32 v15, 16, v8
	v_fmac_f16_e32 v11, v91, v10
	v_mul_f16_e32 v10, v48, v12
	v_fma_f16 v9, v91, v17, -v9
	v_mul_f16_e32 v16, v47, v8
	v_fma_f16 v12, v88, v12, -v14
	s_wait_loadcnt 0x3
	v_lshrrev_b32_e32 v14, 16, v28
	v_fmac_f16_e32 v10, v88, v7
	v_mul_f16_e32 v7, v47, v15
	v_pack_b32_f16 v9, v11, v9
	v_fma_f16 v11, v86, v15, -v16
	v_mul_f16_e32 v15, v46, v28
	s_delay_alu instid0(VALU_DEP_4)
	v_fmac_f16_e32 v7, v86, v8
	ds_store_2addr_b32 v18, v13, v9 offset0:68 offset1:124
	v_pack_b32_f16 v9, v10, v12
	s_wait_loadcnt 0x2
	v_lshrrev_b32_e32 v12, 16, v29
	v_mul_f16_e32 v13, v45, v29
	v_pack_b32_f16 v7, v7, v11
	s_wait_loadcnt 0x1
	v_lshrrev_b32_e32 v11, 16, v6
	v_mul_f16_e32 v8, v46, v14
	v_fma_f16 v10, v83, v14, -v15
	s_wait_loadcnt 0x0
	v_lshrrev_b32_e32 v14, 16, v30
	v_mul_f16_e32 v15, v45, v12
	v_fma_f16 v12, v82, v12, -v13
	v_mul_f16_e32 v13, v44, v6
	v_mul_f16_e32 v16, v44, v11
	;; [unrolled: 1-line block ×4, first 2 shown]
	v_fmac_f16_e32 v8, v83, v28
	v_fmac_f16_e32 v15, v82, v29
	v_fma_f16 v11, v79, v11, -v13
	v_fmac_f16_e32 v16, v79, v6
	v_fmac_f16_e32 v17, v78, v30
	v_fma_f16 v6, v78, v14, -v19
	v_pack_b32_f16 v8, v8, v10
	v_pack_b32_f16 v10, v15, v12
	;; [unrolled: 1-line block ×3, first 2 shown]
	s_delay_alu instid0(VALU_DEP_4)
	v_pack_b32_f16 v6, v17, v6
	ds_store_2addr_b32 v3, v35, v9 offset0:192 offset1:248
	ds_store_2addr_b32 v18, v7, v10 offset0:180 offset1:236
	;; [unrolled: 1-line block ×3, first 2 shown]
	ds_store_b32 v77, v6 offset:5264
	s_and_saveexec_b32 s14, vcc_lo
	s_cbranch_execz .LBB0_3
; %bb.2:
	v_add_co_u32 v0, s2, v0, s2
	s_wait_alu 0xf1ff
	v_add_co_ci_u32_e64 v1, s2, s3, v1, s2
	s_delay_alu instid0(VALU_DEP_2) | instskip(SKIP_1) | instid1(VALU_DEP_2)
	v_add_co_u32 v6, s2, v0, s10
	s_wait_alu 0xf1ff
	v_add_co_ci_u32_e64 v7, s2, s11, v1, s2
	s_clause 0x1
	global_load_b32 v2, v[40:41], off offset:2688
	global_load_b32 v8, v[40:41], off offset:5488
	global_load_b32 v0, v[0:1], off
	global_load_b32 v1, v[6:7], off
	s_wait_loadcnt 0x3
	v_lshrrev_b32_e32 v6, 16, v2
	s_wait_loadcnt 0x2
	v_lshrrev_b32_e32 v7, 16, v8
	;; [unrolled: 2-line block ×4, first 2 shown]
	v_mul_f16_e32 v11, v6, v0
	s_delay_alu instid0(VALU_DEP_3) | instskip(NEXT) | instid1(VALU_DEP_3)
	v_mul_f16_e32 v6, v6, v9
	v_mul_f16_e32 v12, v7, v10
	;; [unrolled: 1-line block ×3, first 2 shown]
	s_delay_alu instid0(VALU_DEP_4) | instskip(NEXT) | instid1(VALU_DEP_4)
	v_fma_f16 v9, v2, v9, -v11
	v_fmac_f16_e32 v6, v2, v0
	s_delay_alu instid0(VALU_DEP_4) | instskip(NEXT) | instid1(VALU_DEP_4)
	v_fmac_f16_e32 v12, v8, v1
	v_fma_f16 v0, v8, v10, -v7
	s_delay_alu instid0(VALU_DEP_3) | instskip(NEXT) | instid1(VALU_DEP_2)
	v_pack_b32_f16 v1, v6, v9
	v_pack_b32_f16 v0, v12, v0
	ds_store_b32 v77, v1 offset:2688
	ds_store_b32 v77, v0 offset:5488
.LBB0_3:
	s_wait_alu 0xfffe
	s_or_b32 exec_lo, exec_lo, s14
	global_wb scope:SCOPE_SE
	s_wait_dscnt 0x0
	s_wait_kmcnt 0x0
	s_barrier_signal -1
	s_barrier_wait -1
	global_inv scope:SCOPE_SE
	ds_load_2addr_b32 v[12:13], v77 offset1:56
	ds_load_2addr_b32 v[0:1], v20 offset0:188 offset1:244
	ds_load_2addr_b32 v[10:11], v77 offset0:112 offset1:168
	;; [unrolled: 1-line block ×6, first 2 shown]
	v_add_nc_u32_e32 v21, 0x1200, v77
	ds_load_2addr_b32 v[22:23], v18 offset0:12 offset1:68
	ds_load_2addr_b32 v[4:5], v3 offset0:192 offset1:248
	;; [unrolled: 1-line block ×5, first 2 shown]
                                        ; implicit-def: $vgpr24
                                        ; implicit-def: $vgpr25
	s_and_saveexec_b32 s2, vcc_lo
	s_cbranch_execz .LBB0_5
; %bb.4:
	ds_load_b32 v24, v77 offset:2688
	ds_load_b32 v25, v77 offset:5488
.LBB0_5:
	s_wait_alu 0xfffe
	s_or_b32 exec_lo, exec_lo, s2
	s_load_b64 s[2:3], s[0:1], 0x8
	v_add_co_u32 v56, s0, v117, 56
	s_wait_dscnt 0xa
	v_pk_add_f16 v28, v12, v0 neg_lo:[0,1] neg_hi:[0,1]
	s_wait_alu 0xf1ff
	v_add_co_ci_u32_e64 v26, null, 0, 0, s0
	v_add_co_u32 v59, s0, 0x70, v117
	s_wait_alu 0xf1ff
	v_add_co_ci_u32_e64 v26, null, 0, 0, s0
	v_lshlrev_b32_e32 v26, 1, v117
	v_pk_add_f16 v29, v13, v1 neg_lo:[0,1] neg_hi:[0,1]
	s_wait_dscnt 0x8
	v_pk_add_f16 v14, v10, v14 neg_lo:[0,1] neg_hi:[0,1]
	v_lshlrev_b32_e32 v133, 3, v117
	v_pk_fma_f16 v27, v12, 2.0, v28 op_sel_hi:[1,0,1] neg_lo:[0,0,1] neg_hi:[0,0,1]
	v_add_co_u32 v58, null, 0xa8, v117
	v_add_co_u32 v57, null, 0xe0, v117
	v_pk_add_f16 v31, v11, v15 neg_lo:[0,1] neg_hi:[0,1]
	s_wait_dscnt 0x6
	v_pk_add_f16 v15, v8, v16 neg_lo:[0,1] neg_hi:[0,1]
	v_pk_add_f16 v17, v9, v17 neg_lo:[0,1] neg_hi:[0,1]
	s_wait_dscnt 0x4
	v_pk_add_f16 v22, v6, v22 neg_lo:[0,1] neg_hi:[0,1]
	global_wb scope:SCOPE_SE
	s_wait_dscnt 0x0
	s_wait_kmcnt 0x0
	s_barrier_signal -1
	s_barrier_wait -1
	global_inv scope:SCOPE_SE
	ds_store_b64 v133, v[27:28]
	v_lshlrev_b32_e32 v135, 3, v56
	v_pk_fma_f16 v28, v13, 2.0, v29 op_sel_hi:[1,0,1] neg_lo:[0,0,1] neg_hi:[0,0,1]
	v_lshlrev_b32_e32 v132, 3, v59
	v_pk_fma_f16 v13, v10, 2.0, v14 op_sel_hi:[1,0,1] neg_lo:[0,0,1] neg_hi:[0,0,1]
	v_lshlrev_b32_e32 v10, 2, v26
	v_add_co_u32 v32, null, 0x2a0, v117
	v_pk_add_f16 v23, v7, v23 neg_lo:[0,1] neg_hi:[0,1]
	v_pk_add_f16 v1, v24, v25 neg_lo:[0,1] neg_hi:[0,1]
	;; [unrolled: 1-line block ×3, first 2 shown]
	v_lshlrev_b32_e32 v134, 3, v58
	v_pk_fma_f16 v30, v11, 2.0, v31 op_sel_hi:[1,0,1] neg_lo:[0,0,1] neg_hi:[0,0,1]
	ds_store_b64 v135, v[28:29]
	ds_store_b64 v132, v[13:14]
	v_lshlrev_b32_e32 v137, 3, v57
	v_pk_fma_f16 v14, v8, 2.0, v15 op_sel_hi:[1,0,1] neg_lo:[0,0,1] neg_hi:[0,0,1]
	v_pk_fma_f16 v16, v9, 2.0, v17 op_sel_hi:[1,0,1] neg_lo:[0,0,1] neg_hi:[0,0,1]
	;; [unrolled: 1-line block ×3, first 2 shown]
	v_add_nc_u32_e32 v6, 0x800, v10
	v_pk_add_f16 v18, v4, v18 neg_lo:[0,1] neg_hi:[0,1]
	v_pk_add_f16 v25, v5, v19 neg_lo:[0,1] neg_hi:[0,1]
	;; [unrolled: 1-line block ×3, first 2 shown]
	v_pk_fma_f16 v0, v24, 2.0, v1 op_sel_hi:[1,0,1] neg_lo:[0,0,1] neg_hi:[0,0,1]
	v_lshlrev_b32_e32 v27, 1, v56
	v_lshlrev_b32_e32 v29, 1, v59
	;; [unrolled: 1-line block ×3, first 2 shown]
	ds_store_b64 v134, v[30:31]
	v_lshlrev_b32_e32 v31, 1, v57
	ds_store_b64 v137, v[14:15]
	v_add_nc_u32_e32 v152, 0x230, v26
	v_add_nc_u32_e32 v153, 0x2a0, v26
	ds_store_2addr_b64 v6, v[16:17], v[21:22] offset0:24 offset1:80
	v_add_nc_u32_e32 v154, 0x310, v26
	v_pk_fma_f16 v22, v7, 2.0, v23 op_sel_hi:[1,0,1] neg_lo:[0,0,1] neg_hi:[0,0,1]
	v_lshlrev_b32_e32 v30, 1, v87
	v_lshlrev_b32_e32 v136, 3, v87
	v_add_nc_u32_e32 v155, 0x3f0, v26
	v_add_nc_u32_e32 v156, 0x460, v26
	v_add_nc_u32_e32 v157, 0x4d0, v26
	v_pk_fma_f16 v33, v3, 2.0, v34 op_sel_hi:[1,0,1] neg_lo:[0,0,1] neg_hi:[0,0,1]
	v_lshlrev_b32_e32 v3, 3, v32
	v_pk_fma_f16 v17, v4, 2.0, v18 op_sel_hi:[1,0,1] neg_lo:[0,0,1] neg_hi:[0,0,1]
	v_pk_fma_f16 v24, v5, 2.0, v25 op_sel_hi:[1,0,1] neg_lo:[0,0,1] neg_hi:[0,0,1]
	;; [unrolled: 1-line block ×3, first 2 shown]
	v_add_nc_u32_e32 v2, 0xc00, v10
	scratch_store_b32 off, v3, off          ; 4-byte Folded Spill
	ds_store_b64 v10, v[22:23] offset:3136
	ds_store_b64 v136, v[17:18]
	ds_store_2addr_b64 v2, v[24:25], v[19:20] offset0:120 offset1:176
	ds_store_b64 v10, v[33:34] offset:4928
	s_and_saveexec_b32 s0, vcc_lo
	s_cbranch_execz .LBB0_7
; %bb.6:
	v_lshlrev_b32_e32 v2, 3, v32
	ds_store_b64 v2, v[0:1]
.LBB0_7:
	s_wait_alu 0xfffe
	s_or_b32 exec_lo, exec_lo, s0
	v_add_nc_u32_e32 v8, 0x800, v77
	v_add_nc_u32_e32 v6, 0xc00, v77
	;; [unrolled: 1-line block ×6, first 2 shown]
	global_wb scope:SCOPE_SE
	s_wait_storecnt_dscnt 0x0
	s_barrier_signal -1
	s_barrier_wait -1
	global_inv scope:SCOPE_SE
	ds_load_2addr_b32 v[2:3], v77 offset1:56
	ds_load_2addr_b32 v[14:15], v8 offset0:188 offset1:244
	ds_load_2addr_b32 v[4:5], v77 offset0:112 offset1:168
	;; [unrolled: 1-line block ×11, first 2 shown]
	s_and_saveexec_b32 s0, vcc_lo
	s_cbranch_execz .LBB0_9
; %bb.8:
	ds_load_b32 v0, v77 offset:2688
	ds_load_b32 v1, v77 offset:5488
.LBB0_9:
	s_wait_alu 0xfffe
	s_or_b32 exec_lo, exec_lo, s0
	v_and_b32_e32 v129, 1, v117
	v_lshlrev_b32_e32 v128, 1, v32
	s_wait_dscnt 0xa
	v_lshrrev_b32_e32 v34, 16, v15
	s_wait_dscnt 0x8
	v_lshrrev_b32_e32 v38, 16, v18
	v_lshrrev_b32_e32 v43, 16, v19
	v_lshlrev_b32_e32 v33, 2, v129
	v_and_or_b32 v32, 0x7c, v26, v129
	v_and_or_b32 v66, 0xfc, v27, v129
	;; [unrolled: 1-line block ×4, first 2 shown]
	global_load_b32 v130, v33, s[2:3]
	v_lshrrev_b32_e32 v33, 16, v14
	v_and_or_b32 v69, 0x3fc, v31, v129
	v_and_or_b32 v70, 0x2fc, v152, v129
	;; [unrolled: 1-line block ×4, first 2 shown]
	s_wait_dscnt 0x6
	v_lshrrev_b32_e32 v45, 16, v20
	v_and_or_b32 v73, 0x3fc, v30, v129
	v_and_or_b32 v74, 0x7fc, v155, v129
	v_lshrrev_b32_e32 v47, 16, v21
	s_wait_dscnt 0x4
	v_lshrrev_b32_e32 v49, 16, v24
	v_lshrrev_b32_e32 v51, 16, v25
	s_wait_dscnt 0x2
	v_lshrrev_b32_e32 v53, 16, v22
	;; [unrolled: 3-line block ×3, first 2 shown]
	v_lshrrev_b32_e32 v63, 16, v17
	v_lshrrev_b32_e32 v64, 16, v1
	v_and_or_b32 v75, 0x4fc, v156, v129
	v_and_or_b32 v76, 0x5fc, v157, v129
	v_lshlrev_b32_e32 v149, 2, v32
	v_lshlrev_b32_e32 v150, 2, v66
	;; [unrolled: 1-line block ×10, first 2 shown]
	v_lshrrev_b32_e32 v35, 16, v2
	v_lshlrev_b32_e32 v142, 2, v75
	v_lshlrev_b32_e32 v143, 2, v76
	v_lshrrev_b32_e32 v36, 16, v3
	v_lshrrev_b32_e32 v37, 16, v4
	v_lshrrev_b32_e32 v39, 16, v5
	v_lshrrev_b32_e32 v44, 16, v10
	v_lshrrev_b32_e32 v46, 16, v11
	v_lshrrev_b32_e32 v48, 16, v6
	v_lshrrev_b32_e32 v50, 16, v7
	v_lshrrev_b32_e32 v52, 16, v12
	v_lshrrev_b32_e32 v54, 16, v13
	v_lshrrev_b32_e32 v60, 16, v8
	v_lshrrev_b32_e32 v62, 16, v9
	v_lshrrev_b32_e32 v65, 16, v0
	global_wb scope:SCOPE_SE
	s_wait_loadcnt 0x0
	s_barrier_signal -1
	s_barrier_wait -1
	global_inv scope:SCOPE_SE
	v_lshrrev_b32_e32 v158, 16, v130
	s_delay_alu instid0(VALU_DEP_1)
	v_mul_f16_e64 v32, v33, v158
	v_mul_f16_e64 v66, v14, v158
	;; [unrolled: 1-line block ×26, first 2 shown]
	v_fma_f16 v14, v14, v130, -v32
	v_fmac_f16_e64 v66, v33, v130
	v_fma_f16 v15, v15, v130, -v67
	v_fmac_f16_e64 v68, v34, v130
	;; [unrolled: 2-line block ×13, first 2 shown]
	v_sub_f16_e32 v14, v2, v14
	v_sub_f16_e32 v38, v35, v66
	;; [unrolled: 1-line block ×13, first 2 shown]
	v_sub_f16_e64 v53, v48, v151
	v_sub_f16_e32 v55, v7, v25
	v_sub_f16_e64 v61, v50, v160
	v_sub_f16_e32 v22, v12, v22
	;; [unrolled: 2-line block ×6, first 2 shown]
	v_sub_f16_e64 v34, v65, v170
	v_fma_f16 v1, v2, 2.0, -v14
	v_fma_f16 v2, v35, 2.0, -v38
	;; [unrolled: 1-line block ×26, first 2 shown]
	v_pack_b32_f16 v0, v14, v38
	v_pack_b32_f16 v1, v1, v2
	;; [unrolled: 1-line block ×24, first 2 shown]
	ds_store_2addr_b32 v149, v1, v0 offset1:2
	ds_store_2addr_b32 v150, v2, v14 offset1:2
	;; [unrolled: 1-line block ×12, first 2 shown]
	s_and_saveexec_b32 s0, vcc_lo
	s_cbranch_execz .LBB0_11
; %bb.10:
	v_and_or_b32 v0, 0x57c, v128, v129
	v_perm_b32 v1, v32, v25, 0x5040100
	v_perm_b32 v2, v34, v33, 0x5040100
	s_delay_alu instid0(VALU_DEP_3)
	v_lshlrev_b32_e32 v0, 2, v0
	ds_store_2addr_b32 v0, v1, v2 offset1:2
.LBB0_11:
	s_wait_alu 0xfffe
	s_or_b32 exec_lo, exec_lo, s0
	v_add_nc_u32_e32 v6, 0x800, v77
	v_add_nc_u32_e32 v4, 0xc00, v77
	;; [unrolled: 1-line block ×6, first 2 shown]
	global_wb scope:SCOPE_SE
	s_wait_dscnt 0x0
	s_barrier_signal -1
	s_barrier_wait -1
	global_inv scope:SCOPE_SE
	ds_load_2addr_b32 v[0:1], v77 offset1:56
	ds_load_2addr_b32 v[13:14], v6 offset0:188 offset1:244
	ds_load_2addr_b32 v[2:3], v77 offset0:112 offset1:168
	;; [unrolled: 1-line block ×11, first 2 shown]
	s_and_saveexec_b32 s0, vcc_lo
	s_cbranch_execz .LBB0_13
; %bb.12:
	ds_load_b32 v25, v77 offset:2688
	ds_load_b32 v33, v77 offset:5488
	s_wait_dscnt 0x1
	v_lshrrev_b32_e32 v32, 16, v25
	s_wait_dscnt 0x0
	v_lshrrev_b32_e32 v34, 16, v33
.LBB0_13:
	s_wait_alu 0xfffe
	s_or_b32 exec_lo, exec_lo, s0
	v_and_b32_e32 v131, 3, v117
	s_wait_dscnt 0xa
	v_lshrrev_b32_e32 v37, 16, v14
	s_wait_dscnt 0x8
	v_lshrrev_b32_e32 v39, 16, v17
	v_lshrrev_b32_e32 v44, 16, v18
	s_wait_dscnt 0x6
	v_lshrrev_b32_e32 v46, 16, v19
	v_lshlrev_b32_e32 v8, 2, v131
	v_and_or_b32 v26, 0x78, v26, v131
	v_and_or_b32 v27, 0xf8, v27, v131
	;; [unrolled: 1-line block ×4, first 2 shown]
	global_load_b32 v151, v8, s[2:3] offset:8
	v_lshrrev_b32_e32 v8, 16, v13
	v_and_or_b32 v31, 0x3f8, v31, v131
	v_and_or_b32 v30, 0x3f8, v30, v131
	;; [unrolled: 1-line block ×6, first 2 shown]
	v_lshrrev_b32_e32 v48, 16, v20
	s_wait_dscnt 0x4
	v_lshrrev_b32_e32 v50, 16, v23
	v_lshrrev_b32_e32 v52, 16, v24
	s_wait_dscnt 0x2
	v_lshrrev_b32_e32 v54, 16, v21
	;; [unrolled: 3-line block ×3, first 2 shown]
	v_lshrrev_b32_e32 v64, 16, v16
	v_and_or_b32 v69, 0x4f8, v156, v131
	v_and_or_b32 v70, 0x5f8, v157, v131
	v_lshlrev_b32_e32 v171, 2, v26
	v_lshlrev_b32_e32 v172, 2, v27
	;; [unrolled: 1-line block ×10, first 2 shown]
	v_lshrrev_b32_e32 v35, 16, v0
	v_lshlrev_b32_e32 v162, 2, v69
	v_lshlrev_b32_e32 v163, 2, v70
	v_lshrrev_b32_e32 v36, 16, v1
	v_lshrrev_b32_e32 v38, 16, v2
	;; [unrolled: 1-line block ×11, first 2 shown]
	global_wb scope:SCOPE_SE
	s_wait_loadcnt 0x0
	s_barrier_signal -1
	s_barrier_wait -1
	global_inv scope:SCOPE_SE
	v_lshrrev_b32_e32 v175, 16, v151
	s_delay_alu instid0(VALU_DEP_1)
	v_mul_f16_e64 v26, v8, v175
	v_mul_f16_e64 v27, v13, v175
	;; [unrolled: 1-line block ×25, first 2 shown]
	v_fma_f16 v13, v13, v151, -v26
	v_fmac_f16_e64 v27, v8, v151
	v_fma_f16 v8, v14, v151, -v28
	v_fmac_f16_e64 v29, v37, v151
	v_fma_f16 v14, v17, v151, -v30
	v_fmac_f16_e64 v31, v39, v151
	v_fma_f16 v17, v18, v151, -v65
	v_fmac_f16_e64 v66, v44, v151
	v_fma_f16 v18, v19, v151, -v67
	v_fmac_f16_e64 v68, v46, v151
	v_mul_f16_e64 v179, v33, v175
	v_fma_f16 v19, v20, v151, -v69
	v_fmac_f16_e64 v70, v48, v151
	v_fma_f16 v20, v23, v151, -v71
	v_fmac_f16_e64 v72, v50, v151
	;; [unrolled: 2-line block ×7, first 2 shown]
	v_fma_f16 v24, v33, v151, -v178
	v_sub_f16_e32 v13, v0, v13
	v_sub_f16_e32 v26, v35, v27
	;; [unrolled: 1-line block ×10, first 2 shown]
	v_fmac_f16_e64 v179, v34, v151
	v_sub_f16_e32 v19, v10, v19
	v_sub_f16_e32 v33, v47, v70
	;; [unrolled: 1-line block ×9, first 2 shown]
	v_sub_f16_e64 v44, v55, v170
	v_sub_f16_e32 v15, v6, v15
	v_sub_f16_e64 v46, v61, v174
	v_sub_f16_e32 v16, v7, v16
	;; [unrolled: 2-line block ×3, first 2 shown]
	v_fma_f16 v0, v0, 2.0, -v13
	v_fma_f16 v24, v35, 2.0, -v26
	;; [unrolled: 1-line block ×10, first 2 shown]
	v_sub_f16_e64 v60, v32, v179
	v_fma_f16 v10, v10, 2.0, -v19
	v_fma_f16 v45, v47, 2.0, -v33
	v_fma_f16 v4, v4, 2.0, -v20
	v_fma_f16 v47, v49, 2.0, -v34
	v_fma_f16 v5, v5, 2.0, -v23
	v_fma_f16 v49, v51, 2.0, -v37
	v_fma_f16 v11, v11, 2.0, -v21
	v_fma_f16 v50, v53, 2.0, -v39
	v_fma_f16 v12, v12, 2.0, -v22
	v_fma_f16 v51, v55, 2.0, -v44
	v_fma_f16 v6, v6, 2.0, -v15
	v_fma_f16 v52, v61, 2.0, -v46
	v_fma_f16 v7, v7, 2.0, -v16
	v_fma_f16 v53, v63, 2.0, -v48
	v_pack_b32_f16 v13, v13, v26
	v_pack_b32_f16 v0, v0, v24
	;; [unrolled: 1-line block ×24, first 2 shown]
	ds_store_2addr_b32 v171, v0, v13 offset1:4
	ds_store_2addr_b32 v172, v1, v26 offset1:4
	;; [unrolled: 1-line block ×12, first 2 shown]
	s_and_saveexec_b32 s0, vcc_lo
	s_cbranch_execz .LBB0_15
; %bb.14:
	v_fma_f16 v0, v25, 2.0, -v8
	v_and_or_b32 v1, 0x578, v128, v131
	v_fma_f16 v2, v32, 2.0, -v60
	s_delay_alu instid0(VALU_DEP_2) | instskip(NEXT) | instid1(VALU_DEP_2)
	v_lshlrev_b32_e32 v1, 2, v1
	v_pack_b32_f16 v0, v0, v2
	v_perm_b32 v2, v60, v8, 0x5040100
	ds_store_2addr_b32 v1, v0, v2 offset1:4
.LBB0_15:
	s_wait_alu 0xfffe
	s_or_b32 exec_lo, exec_lo, s0
	v_and_b32_e32 v14, 7, v117
	global_wb scope:SCOPE_SE
	s_wait_dscnt 0x0
	s_barrier_signal -1
	s_barrier_wait -1
	global_inv scope:SCOPE_SE
	v_lshlrev_b32_e32 v0, 4, v14
	v_add_nc_u32_e32 v9, 0x200, v77
	v_add_nc_u32_e32 v16, 0x800, v77
	;; [unrolled: 1-line block ×4, first 2 shown]
	global_load_b128 v[0:3], v0, s[2:3] offset:24
	ds_load_2addr_b32 v[6:7], v77 offset1:56
	ds_load_2addr_b32 v[4:5], v77 offset0:112 offset1:168
	v_add_nc_u32_e32 v19, 0x400, v77
	ds_load_b32 v12, v77 offset:5376
	ds_load_2addr_b32 v[10:11], v9 offset0:96 offset1:152
	ds_load_2addr_b32 v[27:28], v16 offset0:48 offset1:104
	;; [unrolled: 1-line block ×5, first 2 shown]
	v_add_nc_u32_e32 v13, 0x1200, v77
	v_add_nc_u32_e32 v15, 0xe00, v77
	ds_load_2addr_b32 v[36:37], v18 offset0:128 offset1:184
	ds_load_2addr_b32 v[38:39], v16 offset0:160 offset1:216
	;; [unrolled: 1-line block ×5, first 2 shown]
	global_wb scope:SCOPE_SE
	s_wait_loadcnt_dscnt 0x0
	s_barrier_signal -1
	s_barrier_wait -1
	global_inv scope:SCOPE_SE
	v_cmp_gt_u16_e64 s0, 32, v117
	v_lshrrev_b32_e32 v49, 16, v12
	v_lshrrev_b32_e32 v50, 16, v11
	;; [unrolled: 1-line block ×29, first 2 shown]
	s_delay_alu instid0(VALU_DEP_4)
	v_mul_f16_e64 v75, v50, v174
	v_mul_f16_e64 v76, v11, v174
	;; [unrolled: 1-line block ×29, first 2 shown]
	v_fma_f16 v11, v11, v0, -v75
	v_fmac_f16_e32 v76, v50, v0
	v_fma_f16 v50, v27, v1, -v176
	v_fmac_f16_e64 v177, v51, v1
	v_fma_f16 v33, v33, v2, -v178
	v_fma_f16 v51, v29, v3, -v180
	v_mul_f16_e64 v190, v65, v173
	v_mul_f16_e64 v192, v66, v170
	;; [unrolled: 1-line block ×10, first 2 shown]
	v_fmac_f16_e64 v179, v52, v2
	v_fmac_f16_e32 v13, v53, v3
	v_fma_f16 v34, v34, v0, -v181
	v_fmac_f16_e64 v182, v54, v0
	v_fma_f16 v52, v28, v1, -v183
	v_fmac_f16_e64 v184, v55, v1
	;; [unrolled: 2-line block ×3, first 2 shown]
	v_fma_f16 v53, v30, v3, -v187
	v_fmac_f16_e32 v31, v63, v3
	v_fma_f16 v35, v35, v0, -v188
	v_fmac_f16_e64 v189, v64, v0
	v_fmac_f16_e64 v191, v65, v1
	;; [unrolled: 1-line block ×4, first 2 shown]
	v_fma_f16 v45, v45, v0, -v196
	v_fmac_f16_e64 v197, v68, v0
	v_fmac_f16_e64 v199, v69, v1
	;; [unrolled: 1-line block ×4, first 2 shown]
	v_fma_f16 v27, v32, v1, -v205
	v_fma_f16 v28, v48, v2, -v206
	v_fmac_f16_e32 v26, v49, v3
	v_add_f16_e32 v32, v50, v33
	v_sub_f16_e32 v49, v11, v50
	v_sub_f16_e32 v54, v51, v33
	v_add_f16_e32 v55, v11, v51
	v_add_f16_e32 v64, v22, v76
	v_mul_f16_e64 v202, v71, v164
	v_fma_f16 v38, v38, v1, -v190
	v_fma_f16 v37, v37, v2, -v192
	;; [unrolled: 1-line block ×6, first 2 shown]
	v_fmac_f16_e32 v23, v72, v0
	v_fmac_f16_e32 v25, v74, v2
	v_fma_f16 v30, v12, v3, -v207
	v_add_f16_e32 v12, v6, v11
	v_sub_f16_e64 v48, v177, v179
	v_sub_f16_e32 v62, v50, v11
	v_sub_f16_e32 v63, v33, v51
	;; [unrolled: 1-line block ×3, first 2 shown]
	v_sub_f16_e64 v11, v76, v177
	v_sub_f16_e64 v68, v13, v179
	;; [unrolled: 1-line block ×4, first 2 shown]
	v_add_f16_e32 v72, v7, v34
	v_sub_f16_e64 v74, v182, v31
	v_sub_f16_e64 v180, v52, v34
	;; [unrolled: 1-line block ×3, first 2 shown]
	v_add_f16_e64 v183, v21, v182
	v_add_f16_e64 v185, v184, v186
	v_sub_f16_e64 v188, v182, v184
	v_sub_f16_e64 v190, v31, v186
	v_add_f16_e64 v192, v182, v31
	v_sub_f16_e64 v182, v184, v182
	v_sub_f16_e64 v194, v186, v31
	v_add_f16_e64 v196, v4, v35
	v_add_f16_e64 v210, v191, v193
	;; [unrolled: 1-line block ×7, first 2 shown]
	v_fma_f16 v32, -0.5, v32, v6
	v_add_f16_e32 v49, v49, v54
	v_fma_f16 v6, -0.5, v55, v6
	v_add_f16_e64 v54, v64, v177
	v_fma_f16 v44, v44, v3, -v202
	v_fmac_f16_e32 v24, v73, v1
	v_sub_f16_e32 v46, v76, v13
	v_add_f16_e64 v65, v177, v179
	v_sub_f16_e32 v67, v50, v33
	v_add_f16_e32 v69, v76, v13
	v_add_f16_e32 v73, v52, v36
	v_sub_f16_e32 v76, v34, v52
	v_sub_f16_e64 v176, v53, v36
	v_sub_f16_e64 v187, v52, v36
	v_add_f16_e64 v198, v38, v37
	v_sub_f16_e64 v204, v35, v38
	v_sub_f16_e64 v205, v43, v37
	v_add_f16_e64 v206, v35, v43
	v_sub_f16_e64 v207, v38, v35
	v_add_f16_e64 v209, v20, v189
	;; [unrolled: 2-line block ×3, first 2 shown]
	v_sub_f16_e64 v220, v45, v39
	v_sub_f16_e64 v223, v39, v45
	v_add_f16_e64 v225, v15, v197
	v_sub_f16_e64 v227, v39, v47
	v_add_f16_e64 v232, v10, v29
	v_sub_f16_e64 v234, v23, v26
	v_add_f16_e32 v12, v12, v50
	v_add_f16_e32 v50, v62, v63
	;; [unrolled: 1-line block ×5, first 2 shown]
	v_add_f16_e64 v68, v180, v181
	v_fma_f16 v70, -0.5, v185, v21
	v_add_f16_e64 v71, v188, v190
	v_fmac_f16_e64 v21, -0.5, v192
	v_add_f16_e64 v72, v182, v194
	v_add_f16_e64 v38, v196, v38
	v_fma_f16 v180, -0.5, v210, v20
	v_fmac_f16_e64 v20, -0.5, v214
	v_add_f16_e64 v39, v216, v39
	v_fma_f16 v188, -0.5, v226, v15
	v_fmac_f16_e64 v15, -0.5, v230
	v_fma_f16 v11, -0.5, v233, v10
	v_fma_f16 v194, 0xbb9c, v48, v6
	v_fmac_f16_e32 v6, 0x3b9c, v48
	v_add_f16_e64 v54, v54, v179
	v_add_f16_e64 v178, v34, v53
	v_sub_f16_e32 v34, v34, v53
	v_sub_f16_e64 v200, v189, v195
	v_sub_f16_e64 v202, v191, v193
	;; [unrolled: 1-line block ×3, first 2 shown]
	v_sub_f16_e32 v35, v35, v43
	v_sub_f16_e64 v212, v189, v191
	v_sub_f16_e64 v189, v191, v189
	v_add_f16_e64 v222, v45, v44
	v_sub_f16_e32 v45, v45, v44
	v_sub_f16_e64 v235, v24, v25
	v_sub_f16_e64 v236, v29, v27
	v_fma_f16 v55, -0.5, v65, v22
	v_fmac_f16_e32 v22, -0.5, v69
	v_fma_f16 v65, -0.5, v73, v7
	v_add_f16_e64 v64, v76, v176
	v_add_f16_e64 v69, v183, v184
	v_fma_f16 v73, -0.5, v198, v4
	v_add_f16_e64 v76, v204, v205
	v_fma_f16 v4, -0.5, v206, v4
	v_add_f16_e64 v177, v209, v191
	v_add_f16_e64 v185, v225, v199
	;; [unrolled: 1-line block ×3, first 2 shown]
	v_add_f16_e32 v33, v12, v33
	v_fma_f16 v192, 0x3b9c, v46, v32
	v_fmac_f16_e32 v32, 0xbb9c, v46
	v_fma_f16 v198, 0x3b9c, v187, v21
	v_fmac_f16_e64 v21, 0xbb9c, v187
	v_add_f16_e32 v37, v38, v37
	v_fma_f16 v204, 0x3b9c, v211, v20
	v_fmac_f16_e64 v20, 0xbb9c, v211
	v_add_f16_e32 v39, v39, v47
	v_fma_f16 v206, 0x3b9c, v227, v15
	v_fmac_f16_e64 v15, 0xbb9c, v227
	v_fma_f16 v12, 0x3b9c, v234, v11
	v_fmac_f16_e64 v194, 0x38b4, v46
	v_fmac_f16_e32 v6, 0xb8b4, v46
	v_add_f16_e32 v46, v54, v13
	v_sub_f16_e32 v13, v30, v28
	v_fmac_f16_e64 v11, 0xbb9c, v234
	v_sub_f16_e64 v75, v184, v186
	v_sub_f16_e64 v213, v195, v193
	;; [unrolled: 1-line block ×8, first 2 shown]
	v_fma_f16 v196, 0x3b9c, v67, v22
	v_fmac_f16_e32 v22, 0xbb9c, v67
	v_add_f16_e64 v69, v69, v186
	v_fma_f16 v186, 0xbb9c, v34, v70
	v_fmac_f16_e32 v70, 0x3b9c, v34
	v_add_f16_e64 v177, v177, v193
	v_fma_f16 v193, 0xbb9c, v35, v180
	v_fmac_f16_e64 v180, 0x3b9c, v35
	v_add_f16_e64 v185, v185, v201
	v_fma_f16 v201, 0xbb9c, v45, v188
	v_fmac_f16_e64 v188, 0x3b9c, v45
	v_fmac_f16_e64 v192, 0x38b4, v48
	v_fmac_f16_e32 v32, 0xb8b4, v48
	v_fmac_f16_e64 v198, 0xb8b4, v34
	v_fmac_f16_e32 v21, 0x38b4, v34
	v_add_f16_e32 v34, v37, v43
	v_fmac_f16_e64 v204, 0xb8b4, v35
	v_fmac_f16_e32 v20, 0x38b4, v35
	v_add_f16_e32 v35, v39, v44
	v_fmac_f16_e64 v206, 0xb8b4, v45
	v_add_f16_e32 v43, v29, v30
	v_fmac_f16_e32 v15, 0x38b4, v45
	v_add_f16_e64 v44, v191, v28
	v_fmac_f16_e64 v12, 0x38b4, v235
	v_add_f16_e64 v45, v236, v13
	v_fmac_f16_e64 v11, 0xb8b4, v235
	v_add_f16_e32 v36, v52, v36
	v_fmamk_f16 v52, v74, 0x3b9c, v65
	v_fmac_f16_e32 v65, 0xbb9c, v74
	v_fmac_f16_e64 v196, 0xb8b4, v66
	v_fmac_f16_e32 v22, 0x38b4, v66
	v_fmac_f16_e64 v192, 0x34f2, v49
	;; [unrolled: 2-line block ×3, first 2 shown]
	v_fmac_f16_e32 v6, 0x34f2, v50
	v_fmac_f16_e32 v10, -0.5, v43
	v_add_f16_e32 v43, v44, v30
	v_fmac_f16_e32 v12, 0x34f2, v45
	v_sub_f16_e32 v44, v27, v29
	v_sub_f16_e32 v48, v28, v30
	v_add_f16_e32 v49, v61, v23
	v_add_f16_e32 v50, v24, v25
	v_fmac_f16_e32 v11, 0x34f2, v45
	v_add_f16_e32 v45, v23, v26
	v_fmac_f16_e32 v52, 0x38b4, v75
	v_fmac_f16_e32 v65, 0xb8b4, v75
	v_fmac_f16_e64 v196, 0x34f2, v63
	v_fmac_f16_e32 v22, 0x34f2, v63
	v_add_f16_e32 v44, v44, v48
	v_add_f16_e32 v48, v49, v24
	v_fma_f16 v63, -0.5, v50, v61
	v_sub_f16_e32 v27, v27, v28
	v_fmac_f16_e32 v61, -0.5, v45
	v_fmac_f16_e32 v52, 0x34f2, v64
	v_fmac_f16_e32 v65, 0x34f2, v64
	v_sub_f16_e32 v29, v29, v30
	v_add_f16_e32 v30, v48, v25
	v_sub_f16_e32 v28, v23, v24
	v_sub_f16_e32 v48, v26, v25
	v_fmamk_f16 v64, v27, 0x3b9c, v61
	v_sub_f16_e32 v23, v24, v23
	v_sub_f16_e32 v24, v25, v26
	v_fmac_f16_e32 v61, 0xbb9c, v27
	v_lshrrev_b32_e32 v25, 3, v117
	v_fma_f16 v179, 0xbb9c, v66, v55
	v_sub_f16_e64 v218, v197, v203
	v_sub_f16_e64 v228, v197, v199
	;; [unrolled: 1-line block ×3, first 2 shown]
	v_fmac_f16_e64 v7, -0.5, v178
	v_fmac_f16_e32 v55, 0x3b9c, v66
	v_fmac_f16_e32 v64, 0xb8b4, v29
	v_add_f16_e32 v23, v23, v24
	v_fmac_f16_e32 v61, 0x38b4, v29
	v_mul_u32_u24_e32 v24, 40, v25
	v_fma_f16 v199, 0xbb9c, v202, v4
	v_fmac_f16_e64 v4, 0x3b9c, v202
	v_fmac_f16_e64 v179, 0xb8b4, v67
	v_add_f16_e64 v190, v197, v231
	v_fma_f16 v197, 0xbb9c, v75, v7
	v_fmac_f16_e32 v7, 0x3b9c, v75
	v_fmac_f16_e32 v55, 0x38b4, v67
	;; [unrolled: 1-line block ×4, first 2 shown]
	v_or_b32_e32 v23, v24, v14
	v_lshrrev_b32_e32 v24, 3, v56
	v_add_f16_e64 v176, v207, v208
	v_add_f16_e32 v33, v33, v51
	v_fmac_f16_e64 v199, 0x38b4, v200
	v_fmac_f16_e64 v4, 0xb8b4, v200
	;; [unrolled: 1-line block ×3, first 2 shown]
	v_fmac_f16_e32 v7, 0xb8b4, v74
	v_fmac_f16_e64 v186, 0xb8b4, v187
	v_fmac_f16_e32 v55, 0x34f2, v62
	v_mul_u32_u24_e32 v24, 40, v24
	v_fmac_f16_e64 v197, 0x38b4, v74
	v_fmac_f16_e64 v199, 0x34f2, v176
	;; [unrolled: 1-line block ×3, first 2 shown]
	v_lshlrev_b32_e32 v176, 2, v23
	v_pack_b32_f16 v23, v33, v46
	v_pack_b32_f16 v25, v192, v179
	v_add_f16_e32 v30, v30, v26
	v_pack_b32_f16 v26, v194, v196
	v_pack_b32_f16 v6, v6, v22
	v_fma_f16 v182, -0.5, v217, v5
	v_add_f16_e32 v36, v36, v53
	v_add_f16_e32 v31, v69, v31
	v_fmac_f16_e32 v7, 0x34f2, v68
	v_fmac_f16_e64 v186, 0x34f2, v71
	v_fmac_f16_e32 v21, 0x34f2, v72
	v_pack_b32_f16 v22, v32, v55
	v_or_b32_e32 v24, v24, v14
	v_fma_f16 v38, 0x3b9c, v200, v73
	v_fmac_f16_e64 v197, 0x34f2, v68
	v_fmac_f16_e64 v198, 0x34f2, v72
	ds_store_2addr_b32 v176, v23, v25 offset1:8
	ds_store_2addr_b32 v176, v26, v6 offset0:16 offset1:24
	v_lshrrev_b32_e32 v6, 3, v59
	v_fmac_f16_e64 v73, 0xbb9c, v200
	v_fmac_f16_e64 v5, -0.5, v222
	v_fma_f16 v47, 0x3b9c, v218, v182
	v_add_f16_e64 v37, v177, v195
	ds_store_b32 v176, v22 offset:128
	v_lshlrev_b32_e32 v177, 2, v24
	v_pack_b32_f16 v22, v36, v31
	v_pack_b32_f16 v23, v52, v186
	;; [unrolled: 1-line block ×3, first 2 shown]
	v_lshrrev_b32_e32 v21, 3, v58
	v_add_f16_e64 v178, v212, v213
	v_fmac_f16_e64 v70, 0x38b4, v187
	v_fmac_f16_e64 v38, 0x38b4, v202
	;; [unrolled: 1-line block ×3, first 2 shown]
	v_mul_u32_u24_e32 v6, 40, v6
	v_pack_b32_f16 v24, v197, v198
	v_add_f16_e64 v181, v189, v215
	v_fmac_f16_e64 v73, 0xb8b4, v202
	v_fmac_f16_e64 v180, 0x38b4, v211
	v_fma_f16 v205, 0xbb9c, v219, v5
	v_fmac_f16_e64 v5, 0x3b9c, v219
	v_add_f16_e64 v183, v220, v221
	v_add_f16_e64 v189, v228, v229
	v_fmac_f16_e64 v182, 0xbb9c, v218
	v_fmac_f16_e64 v47, 0x38b4, v219
	;; [unrolled: 1-line block ×3, first 2 shown]
	ds_store_2addr_b32 v177, v22, v23 offset1:8
	ds_store_2addr_b32 v177, v24, v7 offset0:16 offset1:24
	v_mul_u32_u24_e32 v7, 40, v21
	v_fmac_f16_e32 v70, 0x34f2, v71
	v_fmac_f16_e32 v38, 0x34f2, v76
	v_fmac_f16_e64 v193, 0x34f2, v178
	v_fmamk_f16 v62, v29, 0xbb9c, v63
	v_or_b32_e32 v6, v6, v14
	v_lshrrev_b32_e32 v23, 3, v57
	v_fmac_f16_e64 v204, 0x34f2, v181
	v_fmac_f16_e64 v20, 0x34f2, v181
	v_fma_f16 v13, 0xbb9c, v235, v10
	v_fmac_f16_e64 v10, 0x3b9c, v235
	v_fmac_f16_e32 v73, 0x34f2, v76
	v_fmac_f16_e64 v180, 0x34f2, v178
	v_fmac_f16_e32 v63, 0x3b9c, v29
	v_add_f16_e64 v184, v223, v224
	v_fmac_f16_e64 v205, 0x38b4, v218
	v_fmac_f16_e64 v5, 0xb8b4, v218
	;; [unrolled: 1-line block ×3, first 2 shown]
	v_add_f16_e64 v39, v185, v203
	v_fmac_f16_e64 v188, 0x38b4, v227
	v_fmac_f16_e64 v47, 0x34f2, v183
	;; [unrolled: 1-line block ×3, first 2 shown]
	v_or_b32_e32 v7, v7, v14
	v_fmac_f16_e32 v62, 0xb8b4, v27
	v_add_f16_e32 v28, v28, v48
	v_pack_b32_f16 v25, v65, v70
	v_lshlrev_b32_e32 v178, 2, v6
	v_pack_b32_f16 v6, v34, v37
	v_pack_b32_f16 v21, v38, v193
	v_mul_u32_u24_e32 v23, 40, v23
	v_fmac_f16_e64 v13, 0x38b4, v234
	v_fmac_f16_e64 v10, 0xb8b4, v234
	v_pack_b32_f16 v22, v199, v204
	v_pack_b32_f16 v4, v4, v20
	v_fmac_f16_e32 v63, 0x38b4, v27
	v_pack_b32_f16 v20, v73, v180
	v_fmac_f16_e64 v205, 0x34f2, v184
	v_fmac_f16_e64 v5, 0x34f2, v184
	;; [unrolled: 1-line block ×6, first 2 shown]
	v_lshlrev_b32_e32 v179, 2, v7
	v_pack_b32_f16 v7, v35, v39
	v_pack_b32_f16 v24, v47, v201
	v_fmac_f16_e32 v62, 0x34f2, v28
	ds_store_b32 v177, v25 offset:128
	ds_store_2addr_b32 v178, v6, v21 offset1:8
	ds_store_2addr_b32 v178, v22, v4 offset0:16 offset1:24
	ds_store_b32 v178, v20 offset:128
	v_or_b32_e32 v4, v23, v14
	v_fmac_f16_e32 v13, 0x34f2, v44
	v_fmac_f16_e32 v10, 0x34f2, v44
	;; [unrolled: 1-line block ×3, first 2 shown]
	v_pack_b32_f16 v6, v205, v206
	v_pack_b32_f16 v5, v5, v15
	ds_store_2addr_b32 v179, v7, v24 offset1:8
	v_pack_b32_f16 v7, v182, v188
	v_lshlrev_b32_e32 v180, 2, v4
	v_pack_b32_f16 v4, v43, v30
	v_pack_b32_f16 v14, v12, v62
	v_pack_b32_f16 v15, v13, v64
	v_pack_b32_f16 v20, v10, v61
	v_pack_b32_f16 v21, v11, v63
	ds_store_2addr_b32 v179, v6, v5 offset0:16 offset1:24
	ds_store_b32 v179, v7 offset:128
	ds_store_2addr_b32 v180, v4, v14 offset1:8
	ds_store_2addr_b32 v180, v15, v20 offset0:16 offset1:24
	ds_store_b32 v180, v21 offset:128
	global_wb scope:SCOPE_SE
	s_wait_dscnt 0x0
	s_barrier_signal -1
	s_barrier_wait -1
	global_inv scope:SCOPE_SE
	ds_load_2addr_b32 v[38:39], v77 offset1:56
	ds_load_2addr_b32 v[14:15], v77 offset0:112 offset1:200
	ds_load_2addr_b32 v[54:55], v19 offset0:144 offset1:200
	ds_load_2addr_b32 v[32:33], v16 offset1:88
	ds_load_2addr_b32 v[52:53], v18 offset0:32 offset1:88
	ds_load_2addr_b32 v[30:31], v18 offset0:144 offset1:232
	;; [unrolled: 1-line block ×3, first 2 shown]
	ds_load_2addr_b32 v[36:37], v19 offset1:56
	ds_load_2addr_b32 v[34:35], v16 offset0:144 offset1:200
	ds_load_2addr_b32 v[28:29], v17 offset0:32 offset1:88
	ds_load_b32 v68, v77 offset:5248
                                        ; implicit-def: $vgpr67
                                        ; implicit-def: $vgpr65
                                        ; implicit-def: $vgpr66
	s_and_saveexec_b32 s1, s0
	s_cbranch_execz .LBB0_17
; %bb.16:
	v_add_nc_u32_e32 v4, 0x880, v77
	v_add_nc_u32_e32 v5, 0xf00, v77
	ds_load_2addr_b32 v[12:13], v9 offset0:40 offset1:240
	ds_load_2addr_b32 v[10:11], v4 offset0:24 offset1:224
	;; [unrolled: 1-line block ×3, first 2 shown]
	ds_load_b32 v65, v77 offset:5472
	s_wait_dscnt 0x3
	v_lshrrev_b32_e32 v62, 16, v12
	v_lshrrev_b32_e32 v64, 16, v13
	s_wait_dscnt 0x2
	v_lshrrev_b32_e32 v61, 16, v10
	v_lshrrev_b32_e32 v63, 16, v11
	;; [unrolled: 3-line block ×3, first 2 shown]
	s_wait_dscnt 0x0
	v_lshrrev_b32_e32 v66, 16, v65
.LBB0_17:
	s_wait_alu 0xfffe
	s_or_b32 exec_lo, exec_lo, s1
	v_subrev_nc_u32_e32 v4, 40, v117
	v_cmp_gt_u16_e64 s1, 40, v117
	s_wait_dscnt 0xa
	v_lshrrev_b32_e32 v22, 16, v38
	s_wait_alu 0xf1ff
	s_delay_alu instid0(VALU_DEP_2) | instskip(SKIP_1) | instid1(VALU_DEP_2)
	v_cndmask_b32_e64 v4, v4, v117, s1
	v_cmp_lt_u16_e64 s1, 39, v117
	v_mul_i32_i24_e32 v6, 24, v4
	v_mul_hi_i32_i24_e32 v5, 24, v4
	s_wait_alu 0xf1ff
	s_delay_alu instid0(VALU_DEP_3) | instskip(NEXT) | instid1(VALU_DEP_3)
	v_cndmask_b32_e64 v16, 0, 0x118, s1
	v_add_co_u32 v6, s1, s2, v6
	s_wait_alu 0xf1ff
	v_add_co_ci_u32_e64 v7, s1, s3, v5, s1
	s_delay_alu instid0(VALU_DEP_3)
	v_add_lshl_u32 v182, v4, v16, 2
	s_wait_dscnt 0x9
	v_lshrrev_b32_e32 v4, 16, v15
	s_clause 0x1
	global_load_b64 v[45:46], v[6:7], off offset:168
	global_load_b128 v[16:19], v[6:7], off offset:152
	s_wait_dscnt 0x4
	v_lshrrev_b32_e32 v6, 16, v50
	s_wait_loadcnt 0x1
	v_lshrrev_b32_e32 v188, 16, v46
	s_wait_loadcnt 0x0
	v_lshrrev_b32_e32 v191, 16, v16
	v_lshrrev_b32_e32 v194, 16, v17
	;; [unrolled: 1-line block ×4, first 2 shown]
	v_mul_f16_e64 v7, v50, v188
	v_mul_f16_e64 v5, v15, v191
	v_lshrrev_b32_e32 v195, 16, v19
	s_delay_alu instid0(VALU_DEP_3) | instskip(NEXT) | instid1(VALU_DEP_3)
	v_fmac_f16_e32 v7, v6, v46
	v_fmac_f16_e32 v5, v4, v16
	v_mul_f16_e64 v4, v4, v191
	v_mul_f16_e64 v6, v6, v188
	s_delay_alu instid0(VALU_DEP_3) | instskip(NEXT) | instid1(VALU_DEP_3)
	v_add_f16_e32 v70, v5, v7
	v_fma_f16 v4, v15, v16, -v4
	s_delay_alu instid0(VALU_DEP_3) | instskip(SKIP_3) | instid1(VALU_DEP_4)
	v_fma_f16 v6, v50, v46, -v6
	v_sub_f16_e32 v71, v5, v7
	v_mul_f16_e64 v5, v54, v194
	v_mul_f16_e64 v7, v31, v190
	v_add_f16_e32 v15, v4, v6
	v_sub_f16_e32 v69, v4, v6
	v_lshrrev_b32_e32 v4, 16, v54
	v_lshrrev_b32_e32 v6, 16, v31
	s_delay_alu instid0(VALU_DEP_2) | instskip(SKIP_1) | instid1(VALU_DEP_3)
	v_fmac_f16_e32 v5, v4, v17
	v_mul_f16_e64 v4, v4, v194
	v_fmac_f16_e32 v7, v6, v45
	v_mul_f16_e64 v6, v6, v190
	s_delay_alu instid0(VALU_DEP_3) | instskip(NEXT) | instid1(VALU_DEP_3)
	v_fma_f16 v4, v54, v17, -v4
	v_add_f16_e32 v72, v5, v7
	s_delay_alu instid0(VALU_DEP_3)
	v_fma_f16 v6, v31, v45, -v6
	v_sub_f16_e32 v73, v5, v7
	v_mul_f16_e64 v5, v33, v196
	v_mul_f16_e64 v7, v52, v195
	v_add_f16_e32 v21, v72, v70
	v_add_f16_e32 v31, v4, v6
	v_sub_f16_e32 v54, v4, v6
	v_lshrrev_b32_e32 v4, 16, v33
	v_lshrrev_b32_e32 v6, 16, v52
	s_delay_alu instid0(VALU_DEP_2) | instskip(SKIP_1) | instid1(VALU_DEP_3)
	v_fmac_f16_e32 v5, v4, v18
	v_mul_f16_e64 v4, v4, v196
	v_fmac_f16_e32 v7, v6, v19
	v_mul_f16_e64 v6, v6, v195
	s_delay_alu instid0(VALU_DEP_3) | instskip(NEXT) | instid1(VALU_DEP_2)
	v_fma_f16 v4, v33, v18, -v4
	v_fma_f16 v6, v52, v19, -v6
	s_delay_alu instid0(VALU_DEP_1)
	v_add_f16_e32 v20, v4, v6
	v_sub_f16_e32 v4, v6, v4
	v_add_f16_e32 v6, v5, v7
	v_sub_f16_e32 v5, v7, v5
	;; [unrolled: 2-line block ×3, first 2 shown]
	v_sub_f16_e32 v76, v69, v4
	v_add_f16_e32 v21, v6, v21
	v_sub_f16_e32 v75, v6, v72
	v_add_f16_e32 v7, v20, v7
	v_sub_f16_e64 v183, v71, v5
	s_delay_alu instid0(VALU_DEP_4) | instskip(NEXT) | instid1(VALU_DEP_3)
	v_add_f16_e32 v22, v22, v21
	v_add_f16_e32 v23, v38, v7
	s_delay_alu instid0(VALU_DEP_2) | instskip(SKIP_1) | instid1(VALU_DEP_3)
	v_fmamk_f16 v38, v21, 0xbcab, v22
	v_sub_f16_e32 v21, v4, v54
	v_fmamk_f16 v33, v7, 0xbcab, v23
	v_sub_f16_e32 v7, v15, v20
	v_pack_b32_f16 v52, v23, v22
	v_sub_f16_e32 v20, v70, v6
	v_add_f16_e32 v6, v4, v54
	v_add_f16_e32 v4, v5, v73
	v_sub_f16_e32 v22, v5, v73
	v_mul_f16_e64 v187, 0x3a52, v7
	v_mul_f16_e64 v185, 0xb846, v21
	;; [unrolled: 1-line block ×3, first 2 shown]
	v_add_f16_e64 v186, v4, v71
	v_mul_f16_e64 v192, 0xb846, v22
	v_fma_f16 v4, 0x2b26, v74, v187
	v_add_f16_e64 v184, v6, v69
	v_fma_f16 v193, 0x3574, v76, v185
	v_and_b32_e32 v6, 0xff, v59
	v_fma_f16 v197, 0x3574, v183, v192
	v_add_f16_e64 v199, v4, v33
	v_fma_f16 v4, 0x2b26, v75, v189
	v_fmac_f16_e64 v193, 0x370e, v184
	v_mul_lo_u16 v6, 0xcd, v6
	v_fmac_f16_e64 v197, 0x370e, v186
	v_sub_f16_e32 v15, v31, v15
	v_add_f16_e64 v200, v4, v38
	v_sub_f16_e32 v31, v72, v70
	v_lshrrev_b16 v206, 13, v6
	v_add_f16_e64 v4, v197, v199
	v_mul_f16_e32 v72, 0x2b26, v75
	v_sub_f16_e64 v5, v200, v193
	s_delay_alu instid0(VALU_DEP_4) | instskip(NEXT) | instid1(VALU_DEP_3)
	v_mul_lo_u16 v6, v206, 40
	v_fma_f16 v72, v31, 0x39e0, -v72
	s_delay_alu instid0(VALU_DEP_3) | instskip(SKIP_4) | instid1(VALU_DEP_4)
	v_pack_b32_f16 v198, v4, v5
	v_and_b32_e32 v4, 0xff, v56
	v_and_b32_e32 v5, 0xff, v58
	v_sub_nc_u16 v6, v59, v6
	v_fma_f16 v31, v31, 0xb9e0, -v189
	v_mul_lo_u16 v4, 0xcd, v4
	s_delay_alu instid0(VALU_DEP_4) | instskip(NEXT) | instid1(VALU_DEP_4)
	v_mul_lo_u16 v5, 0xcd, v5
	v_and_b32_e32 v207, 0xff, v6
	s_delay_alu instid0(VALU_DEP_4) | instskip(NEXT) | instid1(VALU_DEP_4)
	v_add_f16_e32 v31, v31, v38
	v_lshrrev_b16 v203, 13, v4
	s_delay_alu instid0(VALU_DEP_4) | instskip(NEXT) | instid1(VALU_DEP_1)
	v_lshrrev_b16 v5, 13, v5
	v_mul_lo_u16 v4, v5, 40
	s_delay_alu instid0(VALU_DEP_3) | instskip(NEXT) | instid1(VALU_DEP_2)
	v_mul_lo_u16 v5, v203, 40
	v_sub_nc_u16 v4, v58, v4
	s_delay_alu instid0(VALU_DEP_2) | instskip(NEXT) | instid1(VALU_DEP_2)
	v_sub_nc_u16 v5, v56, v5
	v_and_b32_e32 v181, 0xff, v4
	s_delay_alu instid0(VALU_DEP_2) | instskip(NEXT) | instid1(VALU_DEP_2)
	v_and_b32_e32 v204, 0xff, v5
	v_mad_co_u64_u32 v[6:7], null, v181, 24, s[2:3]
	s_delay_alu instid0(VALU_DEP_2)
	v_mad_co_u64_u32 v[4:5], null, v204, 24, s[2:3]
	s_clause 0x1
	global_load_b64 v[49:50], v[4:5], off offset:168
	global_load_b128 v[24:27], v[4:5], off offset:152
	v_mad_co_u64_u32 v[4:5], null, v207, 24, s[2:3]
	s_clause 0x3
	global_load_b64 v[47:48], v[4:5], off offset:168
	global_load_b128 v[20:23], v[4:5], off offset:152
	global_load_b64 v[43:44], v[6:7], off offset:168
	global_load_b128 v[4:7], v[6:7], off offset:152
	global_wb scope:SCOPE_SE
	s_wait_loadcnt_dscnt 0x0
	s_barrier_signal -1
	s_barrier_wait -1
	global_inv scope:SCOPE_SE
	ds_store_2addr_b32 v182, v52, v198 offset1:40
	v_sub_f16_e32 v52, v54, v69
	v_sub_f16_e32 v54, v73, v71
	v_mul_f16_e32 v69, 0x2b26, v74
	s_delay_alu instid0(VALU_DEP_3) | instskip(SKIP_1) | instid1(VALU_DEP_4)
	v_fma_f16 v70, v52, 0x3b00, -v185
	v_mul_f16_e32 v52, 0x3b00, v52
	v_fma_f16 v71, v54, 0x3b00, -v192
	v_mul_f16_e32 v54, 0x3b00, v54
	v_fma_f16 v69, v15, 0x39e0, -v69
	v_fma_f16 v15, v15, 0xb9e0, -v187
	;; [unrolled: 1-line block ×3, first 2 shown]
	v_fmac_f16_e64 v70, 0x370e, v184
	v_fma_f16 v54, v183, 0xb574, -v54
	v_fmac_f16_e64 v71, 0x370e, v186
	v_add_f16_e32 v15, v15, v33
	v_fmac_f16_e64 v52, 0x370e, v184
	v_add_f16_e32 v69, v69, v33
	;; [unrolled: 2-line block ×3, first 2 shown]
	s_delay_alu instid0(VALU_DEP_4) | instskip(SKIP_1) | instid1(VALU_DEP_4)
	v_sub_f16_e32 v72, v31, v52
	v_add_f16_e32 v31, v52, v31
	v_add_f16_e32 v38, v54, v15
	s_delay_alu instid0(VALU_DEP_4)
	v_add_f16_e32 v73, v70, v33
	v_sub_f16_e32 v33, v33, v70
	v_sub_f16_e32 v15, v15, v54
	v_lshrrev_b32_e32 v54, 16, v51
	v_pack_b32_f16 v38, v38, v72
	v_sub_f16_e32 v72, v69, v71
	v_add_f16_e64 v70, v193, v200
	v_pack_b32_f16 v15, v15, v31
	s_delay_alu instid0(VALU_DEP_3) | instskip(SKIP_4) | instid1(VALU_DEP_3)
	v_pack_b32_f16 v72, v72, v73
	ds_store_2addr_b32 v182, v38, v72 offset0:80 offset1:120
	v_add_f16_e32 v38, v71, v69
	v_and_b32_e32 v69, 0xffff, v203
	v_lshrrev_b32_e32 v72, 16, v39
	v_pack_b32_f16 v33, v38, v33
	v_lshrrev_b32_e32 v38, 16, v53
	s_delay_alu instid0(VALU_DEP_4)
	v_mul_u32_u24_e32 v69, 0x118, v69
	ds_store_2addr_b32 v182, v33, v15 offset0:160 offset1:200
	v_lshrrev_b32_e32 v15, 16, v55
	v_add_lshl_u32 v183, v69, v204, 2
	v_lshrrev_b32_e32 v198, 16, v50
	v_lshrrev_b32_e32 v201, 16, v27
	;; [unrolled: 1-line block ×6, first 2 shown]
	v_mul_f16_e64 v52, v38, v201
	v_mul_f16_e64 v31, v15, v202
	;; [unrolled: 1-line block ×3, first 2 shown]
	v_lshrrev_b32_e32 v211, 16, v20
	v_mul_f16_e64 v69, v34, v205
	v_fma_f16 v52, v53, v27, -v52
	v_mul_f16_e64 v53, v53, v201
	v_fma_f16 v31, v55, v25, -v31
	v_mul_f16_e64 v55, v54, v198
	v_fmac_f16_e32 v33, v15, v25
	v_lshrrev_b32_e32 v15, 16, v36
	v_fmac_f16_e32 v53, v38, v27
	v_mul_f16_e64 v38, v36, v204
	v_fma_f16 v55, v51, v50, -v55
	v_mul_f16_e64 v51, v51, v198
	v_lshrrev_b32_e32 v209, 16, v21
	v_lshrrev_b32_e32 v210, 16, v22
	v_fmac_f16_e32 v38, v15, v24
	v_mul_f16_e64 v15, v15, v204
	v_fmac_f16_e32 v51, v54, v50
	v_lshrrev_b32_e32 v208, 16, v48
	s_delay_alu instid0(VALU_DEP_3) | instskip(NEXT) | instid1(VALU_DEP_3)
	v_fma_f16 v15, v36, v24, -v15
	v_add_f16_e32 v54, v38, v51
	v_sub_f16_e32 v38, v38, v51
	v_lshrrev_b32_e32 v51, 16, v28
	s_delay_alu instid0(VALU_DEP_4) | instskip(SKIP_2) | instid1(VALU_DEP_1)
	v_add_f16_e32 v36, v15, v55
	v_sub_f16_e32 v15, v15, v55
	v_mul_f16_e64 v55, v28, v203
	v_fmac_f16_e32 v55, v51, v49
	v_mul_f16_e64 v51, v51, v203
	s_delay_alu instid0(VALU_DEP_1) | instskip(NEXT) | instid1(VALU_DEP_1)
	v_fma_f16 v28, v28, v49, -v51
	v_add_f16_e32 v51, v31, v28
	v_sub_f16_e32 v28, v31, v28
	v_add_f16_e32 v31, v33, v55
	v_sub_f16_e32 v33, v33, v55
	v_lshrrev_b32_e32 v55, 16, v34
	v_add_f16_e32 v71, v51, v36
	s_delay_alu instid0(VALU_DEP_2) | instskip(SKIP_1) | instid1(VALU_DEP_1)
	v_fmac_f16_e32 v69, v55, v26
	v_mul_f16_e64 v55, v55, v205
	v_fma_f16 v34, v34, v26, -v55
	s_delay_alu instid0(VALU_DEP_1)
	v_add_f16_e32 v55, v34, v52
	v_sub_f16_e32 v34, v52, v34
	v_add_f16_e32 v52, v69, v53
	v_sub_f16_e32 v53, v53, v69
	v_sub_f16_e64 v69, v199, v197
	v_add_f16_e32 v71, v55, v71
	v_sub_f16_e32 v75, v34, v28
	v_sub_f16_e32 v73, v54, v52
	v_sub_f16_e64 v184, v53, v33
	v_pack_b32_f16 v69, v69, v70
	v_add_f16_e32 v70, v31, v54
	v_add_f16_e32 v39, v39, v71
	;; [unrolled: 1-line block ×3, first 2 shown]
	v_sub_f16_e32 v34, v15, v34
	v_add_f16_e32 v76, v53, v33
	v_add_f16_e32 v70, v52, v70
	v_fmamk_f16 v71, v71, 0xbcab, v39
	v_sub_f16_e32 v52, v52, v31
	v_sub_f16_e32 v53, v38, v53
	v_mul_f16_e32 v75, 0xb846, v75
	v_add_f16_e32 v72, v72, v70
	v_mul_f16_e32 v73, 0x3a52, v73
	v_mul_f16_e64 v184, 0xb846, v184
	v_add_f16_e32 v74, v74, v15
	v_add_f16_e32 v76, v76, v38
	v_fmamk_f16 v70, v70, 0xbcab, v72
	v_pack_b32_f16 v39, v39, v72
	v_sub_f16_e32 v72, v36, v55
	v_sub_f16_e32 v55, v55, v51
	v_fma_f16 v185, 0x3574, v34, v75
	v_fma_f16 v186, 0x3574, v53, v184
	;; [unrolled: 1-line block ×3, first 2 shown]
	v_mul_f16_e32 v72, 0x3a52, v72
	v_sub_f16_e32 v15, v28, v15
	v_fmac_f16_e64 v185, 0x370e, v74
	v_fmac_f16_e64 v186, 0x370e, v76
	v_add_f16_e64 v189, v189, v70
	v_fma_f16 v187, 0x2b26, v55, v72
	v_sub_f16_e32 v28, v33, v38
	v_fma_f16 v38, v15, 0x3b00, -v75
	v_mul_f16_e32 v15, 0x3b00, v15
	v_sub_f16_e64 v193, v189, v185
	v_add_f16_e64 v187, v187, v71
	v_sub_f16_e32 v36, v51, v36
	v_sub_f16_e32 v31, v31, v54
	v_mul_f16_e32 v33, 0x2b26, v55
	v_fma_f16 v15, v34, 0xb574, -v15
	v_add_f16_e64 v192, v186, v187
	v_fma_f16 v34, v28, 0x3b00, -v184
	v_mul_f16_e32 v28, 0x3b00, v28
	v_fma_f16 v33, v36, 0x39e0, -v33
	v_fma_f16 v36, v36, 0xb9e0, -v72
	v_pack_b32_f16 v192, v192, v193
	ds_store_b32 v182, v69 offset:960
	ds_store_2addr_b32 v183, v39, v192 offset1:40
	v_mul_f16_e32 v39, 0x2b26, v52
	v_fma_f16 v28, v53, 0xb574, -v28
	v_fmac_f16_e32 v15, 0x370e, v74
	v_add_f16_e32 v36, v36, v71
	v_fmac_f16_e32 v38, 0x370e, v74
	v_fma_f16 v39, v31, 0x39e0, -v39
	v_fma_f16 v31, v31, 0xb9e0, -v73
	v_fmac_f16_e32 v28, 0x370e, v76
	v_fmac_f16_e32 v34, 0x370e, v76
	v_add_f16_e32 v33, v33, v71
	v_add_f16_e32 v39, v39, v70
	;; [unrolled: 1-line block ×4, first 2 shown]
	v_sub_f16_e32 v28, v36, v28
	v_lshrrev_b32_e32 v36, 16, v35
	v_add_f16_e32 v53, v38, v39
	v_sub_f16_e32 v52, v31, v15
	v_add_f16_e32 v15, v15, v31
	v_lshrrev_b32_e32 v192, 16, v44
	v_lshrrev_b32_e32 v193, 16, v4
	s_delay_alu instid0(VALU_DEP_4)
	v_pack_b32_f16 v51, v51, v52
	v_sub_f16_e32 v52, v33, v34
	v_add_f16_e32 v33, v34, v33
	v_sub_f16_e32 v34, v39, v38
	v_pack_b32_f16 v15, v28, v15
	v_lshrrev_b32_e32 v38, 16, v30
	v_pack_b32_f16 v52, v52, v53
	v_add_f16_e64 v53, v185, v189
	v_pack_b32_f16 v31, v33, v34
	v_lshrrev_b32_e32 v33, 16, v32
	v_lshrrev_b32_e32 v185, 16, v5
	ds_store_2addr_b32 v183, v51, v52 offset0:80 offset1:120
	v_lshrrev_b32_e32 v51, 16, v29
	ds_store_2addr_b32 v183, v31, v15 offset0:160 offset1:200
	v_and_b32_e32 v15, 0xffff, v206
	v_mul_f16_e64 v31, v37, v211
	v_mul_f16_e64 v34, v33, v209
	v_lshrrev_b32_e32 v206, 16, v23
	v_lshrrev_b32_e32 v189, 16, v43
	v_mul_u32_u24_e32 v15, 0x118, v15
	s_delay_alu instid0(VALU_DEP_4) | instskip(SKIP_2) | instid1(VALU_DEP_4)
	v_fma_f16 v34, v32, v21, -v34
	v_mul_f16_e64 v32, v32, v209
	v_mul_f16_e64 v39, v38, v206
	v_add_lshl_u32 v184, v15, v207, 2
	v_lshrrev_b32_e32 v15, 16, v37
	v_lshrrev_b32_e32 v207, 16, v47
	v_fmac_f16_e32 v32, v33, v21
	v_fma_f16 v39, v30, v23, -v39
	v_mul_f16_e64 v30, v30, v206
	v_mul_f16_e64 v28, v15, v211
	;; [unrolled: 1-line block ×3, first 2 shown]
	v_fmac_f16_e32 v31, v15, v20
	v_lshrrev_b32_e32 v15, 16, v68
	v_fmac_f16_e32 v30, v38, v23
	v_fma_f16 v28, v37, v20, -v28
	v_mul_f16_e64 v37, v36, v210
	v_fma_f16 v52, v29, v47, -v52
	v_mul_f16_e64 v29, v29, v207
	v_mul_f16_e64 v33, v15, v208
	s_delay_alu instid0(VALU_DEP_4) | instskip(SKIP_1) | instid1(VALU_DEP_4)
	v_fma_f16 v37, v35, v22, -v37
	v_mul_f16_e64 v35, v35, v210
	v_fmac_f16_e32 v29, v51, v47
	s_delay_alu instid0(VALU_DEP_4) | instskip(SKIP_1) | instid1(VALU_DEP_4)
	v_fma_f16 v33, v68, v48, -v33
	v_lshrrev_b32_e32 v51, 16, v14
	v_fmac_f16_e32 v35, v36, v22
	v_mul_f16_e64 v36, v68, v208
	v_add_f16_e32 v38, v32, v29
	v_sub_f16_e32 v29, v32, v29
	v_add_f16_e32 v32, v37, v39
	v_sub_f16_e32 v37, v39, v37
	v_fmac_f16_e32 v36, v15, v48
	v_add_f16_e32 v15, v28, v33
	v_sub_f16_e32 v28, v28, v33
	v_add_f16_e32 v39, v35, v30
	v_sub_f16_e32 v30, v30, v35
	;; [unrolled: 2-line block ×4, first 2 shown]
	v_sub_f16_e64 v52, v187, v186
	v_add_f16_e32 v54, v38, v33
	v_sub_f16_e32 v70, v30, v29
	v_add_f16_e32 v35, v36, v15
	v_sub_f16_e32 v68, v37, v34
	v_add_f16_e32 v55, v37, v34
	v_add_f16_e32 v54, v39, v54
	v_sub_f16_e32 v37, v28, v37
	v_add_f16_e32 v35, v32, v35
	;; [unrolled: 3-line block ×3, first 2 shown]
	v_mul_f16_e32 v68, 0xb846, v68
	v_add_f16_e32 v14, v14, v35
	v_mul_f16_e32 v70, 0xb846, v70
	v_add_f16_e32 v55, v55, v28
	v_fmamk_f16 v54, v54, 0xbcab, v51
	v_add_f16_e32 v69, v69, v31
	v_fmamk_f16 v35, v35, 0xbcab, v14
	v_pack_b32_f16 v14, v14, v51
	v_pack_b32_f16 v51, v52, v53
	v_sub_f16_e32 v52, v15, v32
	v_sub_f16_e32 v53, v33, v39
	;; [unrolled: 1-line block ×4, first 2 shown]
	v_fmamk_f16 v71, v37, 0x3574, v68
	v_mul_f16_e32 v52, 0x3a52, v52
	v_mul_f16_e32 v53, 0x3a52, v53
	v_fmamk_f16 v72, v30, 0x3574, v70
	v_sub_f16_e32 v28, v34, v28
	v_fmac_f16_e32 v71, 0x370e, v55
	v_fmamk_f16 v73, v32, 0x2b26, v52
	v_fmamk_f16 v74, v39, 0x2b26, v53
	v_fmac_f16_e32 v72, 0x370e, v69
	v_sub_f16_e32 v29, v29, v31
	v_mul_f16_e32 v31, 0x2b26, v32
	v_add_f16_e32 v73, v73, v35
	v_add_f16_e32 v74, v74, v54
	v_mul_f16_e32 v32, 0x2b26, v39
	v_fma_f16 v34, v29, 0x3b00, -v70
	v_mul_f16_e32 v29, 0x3b00, v29
	v_add_f16_e32 v75, v72, v73
	v_sub_f16_e32 v76, v74, v71
	v_lshrrev_b32_e32 v186, 16, v6
	v_fmac_f16_e32 v34, 0x370e, v69
	v_fma_f16 v29, v30, 0xb574, -v29
	v_lshrrev_b32_e32 v187, 16, v7
	v_pack_b32_f16 v75, v75, v76
	ds_store_b32 v183, v51 offset:960
	ds_store_2addr_b32 v184, v14, v75 offset1:40
	v_sub_f16_e32 v14, v36, v15
	v_sub_f16_e32 v15, v38, v33
	v_fma_f16 v33, v28, 0x3b00, -v68
	v_mul_f16_e32 v28, 0x3b00, v28
	v_fmac_f16_e32 v29, 0x370e, v69
	v_fma_f16 v31, v14, 0x39e0, -v31
	v_fma_f16 v14, v14, 0xb9e0, -v52
	v_fma_f16 v32, v15, 0x39e0, -v32
	v_fma_f16 v15, v15, 0xb9e0, -v53
	v_fma_f16 v28, v37, 0xb574, -v28
	v_add_f16_e32 v30, v31, v35
	v_add_f16_e32 v14, v14, v35
	;; [unrolled: 1-line block ×4, first 2 shown]
	v_fmac_f16_e32 v28, 0x370e, v55
	v_fmac_f16_e32 v33, 0x370e, v55
	v_add_f16_e32 v32, v29, v14
	v_sub_f16_e32 v14, v14, v29
	v_mul_f16_e64 v29, v67, v189
	v_sub_f16_e32 v35, v15, v28
	v_add_f16_e32 v36, v33, v31
	v_sub_f16_e32 v31, v31, v33
	v_add_f16_e32 v15, v28, v15
	v_mul_f16_e64 v33, v64, v193
	v_pack_b32_f16 v32, v32, v35
	v_sub_f16_e32 v35, v30, v34
	v_add_f16_e32 v30, v34, v30
	v_pack_b32_f16 v14, v14, v15
	v_mul_f16_e64 v15, v63, v186
	v_fma_f16 v29, v9, v43, -v29
	v_pack_b32_f16 v35, v35, v36
	v_pack_b32_f16 v28, v30, v31
	v_mul_f16_e64 v30, v66, v192
	v_mul_f16_e64 v31, v65, v192
	v_fma_f16 v15, v11, v6, -v15
	ds_store_2addr_b32 v184, v32, v35 offset0:80 offset1:120
	ds_store_2addr_b32 v184, v28, v14 offset0:160 offset1:200
	v_mul_f16_e64 v14, v61, v185
	v_mul_f16_e64 v28, v60, v187
	v_mul_f16_e64 v32, v13, v193
	v_mul_f16_e64 v11, v11, v186
	v_mul_f16_e64 v9, v9, v189
	v_fma_f16 v14, v10, v5, -v14
	v_mul_f16_e64 v10, v10, v185
	v_fma_f16 v28, v8, v7, -v28
	v_mul_f16_e64 v8, v8, v187
	v_fma_f16 v30, v65, v44, -v30
	v_fmac_f16_e32 v31, v66, v44
	v_fmac_f16_e32 v32, v64, v4
	v_fma_f16 v13, v13, v4, -v33
	v_fmac_f16_e32 v10, v61, v5
	v_fmac_f16_e32 v11, v63, v6
	;; [unrolled: 1-line block ×4, first 2 shown]
	v_add_f16_e32 v33, v13, v30
	v_sub_f16_e32 v13, v13, v30
	v_add_f16_e32 v30, v32, v31
	v_sub_f16_e32 v31, v32, v31
	;; [unrolled: 2-line block ×7, first 2 shown]
	v_sub_f16_e32 v33, v33, v10
	v_sub_f16_e32 v32, v10, v32
	v_sub_f16_e32 v52, v9, v31
	v_add_f16_e32 v37, v10, v11
	v_add_f16_e32 v10, v29, v30
	v_sub_f16_e32 v11, v29, v30
	v_sub_f16_e32 v30, v30, v28
	v_sub_f16_e32 v29, v28, v29
	v_sub_f16_e32 v51, v31, v8
	v_add_f16_e32 v38, v28, v10
	v_add_f16_e32 v10, v15, v14
	v_sub_f16_e32 v28, v15, v14
	;; [unrolled: 6-line block ×3, first 2 shown]
	v_mul_f16_e32 v9, 0x3a52, v33
	v_add_f16_e32 v8, v12, v37
	v_add_f16_e32 v35, v71, v74
	;; [unrolled: 1-line block ×3, first 2 shown]
	v_mul_f16_e32 v10, 0x2b26, v32
	v_fmamk_f16 v31, v32, 0x2b26, v9
	v_fma_f16 v33, v36, 0xb9e0, -v9
	v_mul_f16_e32 v9, 0x3a52, v30
	v_mul_f16_e32 v13, 0xb846, v13
	v_fma_f16 v32, v36, 0x39e0, -v10
	v_mul_f16_e32 v10, 0x2b26, v29
	v_pack_b32_f16 v34, v34, v35
	v_fmamk_f16 v36, v29, 0x2b26, v9
	v_fma_f16 v55, v11, 0xb9e0, -v9
	v_mul_f16_e32 v9, 0xb846, v28
	v_fma_f16 v54, v11, 0x39e0, -v10
	v_mul_f16_e32 v10, 0x3b00, v14
	v_fmamk_f16 v28, v37, 0xbcab, v8
	ds_store_b32 v184, v34 offset:960
	v_fma_f16 v11, v14, 0x3b00, -v9
	v_fmamk_f16 v9, v15, 0x3574, v9
	v_fma_f16 v12, v15, 0xb574, -v10
	v_mul_f16_e32 v15, 0x3b00, v52
	v_fma_f16 v10, v52, 0x3b00, -v13
	v_fmamk_f16 v14, v51, 0x3574, v13
	v_add_f16_e32 v29, v31, v28
	v_add_f16_e32 v30, v33, v28
	v_fma_f16 v13, v51, 0xb574, -v15
	v_add_f16_e32 v15, v32, v28
	v_add_f16_e32 v28, v62, v38
	v_fmac_f16_e32 v9, 0x370e, v39
	v_fmac_f16_e32 v11, 0x370e, v39
	;; [unrolled: 1-line block ×4, first 2 shown]
	v_fmamk_f16 v32, v38, 0xbcab, v28
	v_fmac_f16_e32 v13, 0x370e, v53
	v_fmac_f16_e32 v14, 0x370e, v53
	s_delay_alu instid0(VALU_DEP_4) | instskip(NEXT) | instid1(VALU_DEP_4)
	v_add_f16_e32 v51, v10, v15
	v_add_f16_e32 v31, v36, v32
	;; [unrolled: 1-line block ×4, first 2 shown]
	v_sub_f16_e64 v199, v29, v14
	v_sub_f16_e32 v52, v30, v13
	v_add_f16_e64 v200, v9, v31
	v_sub_f16_e64 v232, v33, v11
	v_add_f16_e64 v197, v12, v32
	s_and_saveexec_b32 s1, s0
	s_cbranch_execz .LBB0_19
; %bb.18:
	v_sub_f16_e32 v9, v31, v9
	v_add_f16_e32 v14, v14, v29
	v_lshlrev_b32_e32 v29, 2, v181
	v_add_f16_e32 v11, v11, v33
	v_sub_f16_e32 v12, v32, v12
	v_add_f16_e32 v13, v13, v30
	v_sub_f16_e32 v10, v15, v10
	v_perm_b32 v8, v28, v8, 0x5040100
	v_pack_b32_f16 v9, v14, v9
	v_add_nc_u32_e32 v14, 0x1000, v29
	v_pack_b32_f16 v12, v13, v12
	v_pack_b32_f16 v10, v10, v11
	v_perm_b32 v11, v232, v51, 0x5040100
	v_perm_b32 v13, v197, v52, 0x5040100
	v_add_nc_u32_e32 v15, 0x1400, v29
	v_perm_b32 v28, v200, v199, 0x5040100
	ds_store_2addr_b32 v14, v8, v9 offset0:96 offset1:136
	ds_store_2addr_b32 v14, v12, v10 offset0:176 offset1:216
	ds_store_2addr_b32 v15, v11, v13 offset1:40
	ds_store_b32 v29, v28 offset:5440
.LBB0_19:
	s_wait_alu 0xfffe
	s_or_b32 exec_lo, exec_lo, s1
	v_lshlrev_b32_e32 v8, 4, v117
	v_lshlrev_b32_e32 v12, 4, v56
	global_wb scope:SCOPE_SE
	s_wait_dscnt 0x0
	s_barrier_signal -1
	s_barrier_wait -1
	global_inv scope:SCOPE_SE
	s_clause 0x1
	global_load_b128 v[8:11], v8, s[2:3] offset:1112
	global_load_b128 v[12:15], v12, s[2:3] offset:1112
	v_add_nc_u32_e32 v67, 0x800, v77
	v_add_nc_u32_e32 v65, 0x1000, v77
	;; [unrolled: 1-line block ×3, first 2 shown]
	ds_load_2addr_b32 v[33:34], v67 offset0:48 offset1:104
	ds_load_2addr_b32 v[53:54], v65 offset0:96 offset1:152
	;; [unrolled: 1-line block ×3, first 2 shown]
	v_add_nc_u32_e32 v68, 0x400, v77
	ds_load_2addr_b32 v[28:29], v77 offset1:56
	ds_load_2addr_b32 v[37:38], v68 offset0:80 offset1:136
	s_wait_dscnt 0x4
	v_lshrrev_b32_e32 v55, 16, v33
	s_wait_dscnt 0x3
	v_lshrrev_b32_e32 v56, 16, v53
	v_lshrrev_b32_e32 v60, 16, v34
	s_wait_dscnt 0x2
	v_lshrrev_b32_e32 v70, 16, v35
	v_lshrrev_b32_e32 v69, 16, v54
	s_wait_loadcnt 0x1
	v_lshrrev_b32_e32 v217, 16, v9
	s_wait_loadcnt 0x0
	v_lshrrev_b32_e32 v214, 16, v13
	v_lshrrev_b32_e32 v215, 16, v11
	;; [unrolled: 1-line block ×4, first 2 shown]
	v_mul_f16_e64 v30, v55, v217
	v_mul_f16_e64 v32, v60, v214
	;; [unrolled: 1-line block ×5, first 2 shown]
	v_fma_f16 v33, v33, v9, -v30
	v_fma_f16 v61, v34, v13, -v32
	v_mul_f16_e64 v30, v53, v215
	v_fma_f16 v32, v53, v11, -v62
	v_lshrrev_b32_e32 v216, 16, v12
	v_mul_f16_e64 v64, v35, v213
	v_mul_f16_e64 v34, v70, v213
	s_wait_dscnt 0x0
	v_lshrrev_b32_e32 v53, 16, v37
	v_mul_f16_e64 v63, v69, v212
	v_mul_f16_e64 v62, v54, v212
	v_fmac_f16_e32 v64, v70, v14
	v_fma_f16 v70, v35, v14, -v34
	v_mul_f16_e64 v34, v53, v216
	v_fma_f16 v63, v54, v15, -v63
	v_fmac_f16_e32 v62, v69, v15
	v_mul_f16_e64 v69, v37, v216
	v_add_f16_e32 v35, v61, v70
	v_fma_f16 v37, v37, v12, -v34
	v_fmac_f16_e32 v39, v60, v13
	v_add_nc_u32_e32 v60, 0x200, v77
	v_fmac_f16_e32 v69, v53, v12
	v_fma_f16 v71, -0.5, v35, v29
	v_add_f16_e32 v34, v37, v63
	v_lshrrev_b32_e32 v35, 16, v29
	v_add_f16_e64 v220, v29, v37
	v_sub_f16_e32 v53, v70, v63
	v_fmac_f16_e32 v31, v55, v9
	v_fmac_f16_e32 v29, -0.5, v34
	v_sub_f16_e32 v34, v61, v37
	v_add_f16_e64 v221, v35, v69
	v_fmac_f16_e32 v30, v56, v11
	ds_load_2addr_b32 v[55:56], v66 offset0:16 offset1:72
	v_lshrrev_b32_e32 v219, 16, v8
	v_add_f16_e32 v73, v34, v53
	v_add_f16_e32 v34, v39, v64
	v_sub_f16_e32 v53, v64, v62
	v_lshrrev_b32_e32 v218, 16, v10
	v_sub_f16_e32 v76, v69, v62
	v_sub_f16_e64 v230, v37, v63
	v_fma_f16 v72, -0.5, v34, v35
	v_add_f16_e32 v34, v69, v62
	v_sub_f16_e32 v37, v37, v61
	s_delay_alu instid0(VALU_DEP_2) | instskip(SKIP_1) | instid1(VALU_DEP_1)
	v_fmac_f16_e32 v35, -0.5, v34
	v_sub_f16_e32 v34, v39, v69
	v_add_f16_e32 v74, v34, v53
	ds_load_2addr_b32 v[53:54], v60 offset0:96 offset1:152
	s_wait_dscnt 0x1
	v_lshrrev_b32_e32 v75, 16, v56
	v_mul_f16_e64 v223, v56, v218
	s_delay_alu instid0(VALU_DEP_1) | instskip(SKIP_1) | instid1(VALU_DEP_2)
	v_fmac_f16_e64 v223, v75, v10
	v_mul_f16_e64 v75, v75, v218
	v_sub_f16_e64 v233, v30, v223
	v_sub_f16_e64 v236, v223, v30
	s_wait_dscnt 0x0
	v_lshrrev_b32_e32 v34, 16, v54
	v_mul_f16_e64 v222, v54, v219
	s_delay_alu instid0(VALU_DEP_1) | instskip(SKIP_1) | instid1(VALU_DEP_2)
	v_fmac_f16_e64 v222, v34, v8
	v_mul_f16_e64 v34, v34, v219
	v_add_f16_e64 v234, v222, v30
	s_delay_alu instid0(VALU_DEP_2) | instskip(SKIP_3) | instid1(VALU_DEP_4)
	v_fma_f16 v34, v54, v8, -v34
	v_fma_f16 v54, v56, v10, -v75
	v_sub_f16_e32 v56, v39, v64
	v_sub_f16_e32 v75, v61, v70
	v_add_f16_e64 v225, v34, v32
	s_delay_alu instid0(VALU_DEP_4) | instskip(NEXT) | instid1(VALU_DEP_4)
	v_add_f16_e64 v224, v33, v54
	v_fma_f16 v228, 0xbb9c, v56, v29
	v_fmac_f16_e32 v29, 0x3b9c, v56
	v_fma_f16 v229, 0x3b9c, v75, v35
	v_fmac_f16_e32 v35, 0xbb9c, v75
	v_fma_f16 v224, -0.5, v224, v28
	v_fma_f16 v225, -0.5, v225, v28
	v_fmac_f16_e32 v29, 0xb8b4, v76
	v_sub_f16_e64 v226, v32, v54
	v_fmac_f16_e64 v35, 0x38b4, v230
	v_sub_f16_e64 v227, v54, v32
	v_fmac_f16_e64 v228, 0x38b4, v76
	v_fmac_f16_e32 v29, 0x34f2, v73
	v_fmac_f16_e64 v229, 0xb8b4, v230
	v_fmac_f16_e32 v35, 0x34f2, v74
	s_delay_alu instid0(VALU_DEP_4) | instskip(NEXT) | instid1(VALU_DEP_3)
	v_fmac_f16_e64 v228, 0x34f2, v73
	v_fmac_f16_e64 v229, 0x34f2, v74
	s_delay_alu instid0(VALU_DEP_3) | instskip(SKIP_3) | instid1(VALU_DEP_3)
	v_pack_b32_f16 v231, v29, v35
	v_lshrrev_b32_e32 v29, 16, v28
	v_add_f16_e32 v28, v28, v34
	v_sub_f16_e32 v35, v34, v33
	v_add_f16_e64 v235, v29, v222
	s_delay_alu instid0(VALU_DEP_3) | instskip(NEXT) | instid1(VALU_DEP_3)
	v_add_f16_e32 v28, v28, v33
	v_add_f16_e64 v35, v35, v226
	v_sub_f16_e64 v226, v33, v34
	v_sub_f16_e32 v33, v33, v54
	v_sub_f16_e32 v34, v34, v32
	v_add_f16_e32 v28, v28, v54
	v_add_f16_e64 v54, v235, v31
	v_add_f16_e64 v226, v226, v227
	v_sub_f16_e64 v227, v222, v31
	s_delay_alu instid0(VALU_DEP_4) | instskip(SKIP_2) | instid1(VALU_DEP_4)
	v_add_f16_e32 v28, v28, v32
	v_sub_f16_e64 v32, v222, v30
	v_add_f16_e64 v54, v54, v223
	v_add_f16_e64 v227, v227, v233
	v_add_f16_e64 v233, v31, v223
	s_delay_alu instid0(VALU_DEP_3) | instskip(SKIP_1) | instid1(VALU_DEP_3)
	v_add_f16_e32 v30, v54, v30
	v_add_nc_u32_e32 v54, 0xe00, v77
	v_fma_f16 v233, -0.5, v233, v29
	v_fmac_f16_e64 v29, -0.5, v234
	v_sub_f16_e64 v234, v31, v222
	v_sub_f16_e64 v31, v31, v223
	v_fma_f16 v222, 0x3b9c, v32, v224
	v_fmac_f16_e64 v224, 0xbb9c, v32
	v_pack_b32_f16 v28, v28, v30
	v_add_f16_e64 v30, v220, v61
	v_fma_f16 v223, 0xbb9c, v31, v225
	v_fmac_f16_e64 v225, 0x3b9c, v31
	v_fmac_f16_e64 v222, 0x38b4, v31
	;; [unrolled: 1-line block ×3, first 2 shown]
	v_fma_f16 v31, 0xbb9c, v34, v233
	v_fmac_f16_e64 v233, 0x3b9c, v34
	v_fmac_f16_e64 v223, 0x38b4, v32
	;; [unrolled: 1-line block ×3, first 2 shown]
	v_fmamk_f16 v32, v33, 0x3b9c, v29
	v_fmac_f16_e32 v29, 0xbb9c, v33
	v_fmac_f16_e32 v31, 0xb8b4, v33
	v_fmac_f16_e64 v233, 0x38b4, v33
	v_add_f16_e64 v33, v221, v39
	v_add_f16_e64 v234, v234, v236
	v_fmac_f16_e32 v32, 0xb8b4, v34
	v_add_f16_e32 v30, v30, v70
	v_fmac_f16_e32 v29, 0x38b4, v34
	v_add_f16_e32 v33, v33, v64
	v_fmac_f16_e64 v222, 0x34f2, v35
	v_fmac_f16_e64 v31, 0x34f2, v227
	;; [unrolled: 1-line block ×6, first 2 shown]
	v_add_f16_e32 v30, v30, v63
	v_add_f16_e32 v33, v33, v62
	v_fmac_f16_e64 v225, 0x34f2, v226
	v_fmac_f16_e64 v29, 0x34f2, v234
	v_pack_b32_f16 v31, v222, v31
	v_pack_b32_f16 v32, v223, v32
	;; [unrolled: 1-line block ×4, first 2 shown]
	v_add_nc_u32_e32 v233, 0x1200, v77
	v_pack_b32_f16 v29, v225, v29
	ds_load_2addr_b32 v[225:226], v67 offset0:160 offset1:216
	ds_load_2addr_b32 v[234:235], v233 offset0:80 offset1:136
	ds_load_2addr_b32 v[236:237], v54 offset0:112 offset1:168
	ds_store_b32 v77, v31 offset:1120
	ds_load_2addr_b32 v[238:239], v77 offset0:112 offset1:168
	ds_load_2addr_b32 v[240:241], v68 offset0:192 offset1:248
	ds_store_b32 v77, v32 offset:2240
	ds_store_b32 v77, v29 offset:3360
	;; [unrolled: 1-line block ×3, first 2 shown]
	ds_load_b32 v242, v77 offset:5376
	ds_store_2addr_b32 v77, v28, v30 offset1:56
	v_lshlrev_b32_e32 v28, 4, v59
	v_lshlrev_b32_e32 v29, 4, v58
	s_clause 0x1
	global_load_b128 v[32:35], v28, s[2:3] offset:1112
	global_load_b128 v[28:31], v29, s[2:3] offset:1112
	v_lshrrev_b32_e32 v222, 16, v36
	v_lshrrev_b32_e32 v58, 16, v38
	v_sub_f16_e32 v61, v63, v70
	v_sub_f16_e32 v39, v69, v39
	v_sub_f16_e32 v62, v62, v64
	v_fma_f16 v224, 0xbb9c, v230, v72
	v_fmac_f16_e64 v72, 0x3b9c, v230
	v_add_f16_e32 v37, v37, v61
	s_delay_alu instid0(VALU_DEP_4)
	v_add_f16_e32 v39, v39, v62
	s_wait_dscnt 0x9
	v_lshrrev_b32_e32 v62, 16, v234
	v_fmac_f16_e64 v224, 0xb8b4, v75
	s_wait_dscnt 0x6
	v_lshrrev_b32_e32 v244, 16, v238
	v_lshrrev_b32_e32 v138, 16, v239
	v_fmac_f16_e32 v72, 0x38b4, v75
	v_fmac_f16_e64 v224, 0x34f2, v39
	s_delay_alu instid0(VALU_DEP_2) | instskip(SKIP_3) | instid1(VALU_DEP_2)
	v_fmac_f16_e32 v72, 0x34f2, v39
	s_wait_loadcnt 0x1
	v_lshrrev_b32_e32 v220, 16, v34
	v_lshrrev_b32_e32 v221, 16, v32
	v_mul_f16_e64 v223, v222, v220
	s_delay_alu instid0(VALU_DEP_2) | instskip(NEXT) | instid1(VALU_DEP_2)
	v_mul_f16_e64 v59, v58, v221
	v_fma_f16 v243, v36, v34, -v223
	v_mul_f16_e64 v36, v36, v220
	s_delay_alu instid0(VALU_DEP_3) | instskip(SKIP_2) | instid1(VALU_DEP_4)
	v_fma_f16 v59, v38, v32, -v59
	v_mul_f16_e64 v38, v38, v221
	v_lshrrev_b32_e32 v223, 16, v33
	v_fmac_f16_e64 v36, v222, v34
	v_lshrrev_b32_e32 v222, 16, v35
	s_delay_alu instid0(VALU_DEP_4) | instskip(SKIP_2) | instid1(VALU_DEP_4)
	v_fmac_f16_e32 v38, v58, v32
	v_lshrrev_b32_e32 v58, 16, v225
	v_mul_f16_e64 v61, v225, v223
	v_mul_f16_e64 v63, v234, v222
	s_delay_alu instid0(VALU_DEP_4) | instskip(NEXT) | instid1(VALU_DEP_3)
	v_add_f16_e64 v102, v244, v38
	v_fmac_f16_e32 v61, v58, v33
	v_mul_f16_e64 v58, v58, v223
	s_delay_alu instid0(VALU_DEP_4) | instskip(SKIP_1) | instid1(VALU_DEP_4)
	v_fmac_f16_e32 v63, v62, v35
	v_mul_f16_e64 v62, v62, v222
	v_sub_f16_e64 v247, v61, v36
	s_delay_alu instid0(VALU_DEP_4) | instskip(NEXT) | instid1(VALU_DEP_4)
	v_fma_f16 v58, v225, v33, -v58
	v_sub_f16_e32 v70, v63, v36
	s_delay_alu instid0(VALU_DEP_4)
	v_fma_f16 v62, v234, v35, -v62
	v_sub_f16_e64 v246, v38, v63
	v_sub_f16_e32 v73, v36, v63
	v_sub_f16_e32 v64, v59, v58
	v_sub_f16_e64 v249, v58, v243
	v_sub_f16_e64 v69, v62, v243
	;; [unrolled: 1-line block ×3, first 2 shown]
	s_delay_alu instid0(VALU_DEP_2) | instskip(SKIP_1) | instid1(VALU_DEP_1)
	v_add_f16_e32 v64, v64, v69
	v_sub_f16_e32 v69, v38, v61
	v_add_f16_e32 v69, v69, v70
	v_fmamk_f16 v70, v76, 0x3b9c, v71
	v_fmac_f16_e32 v71, 0xbb9c, v76
	s_delay_alu instid0(VALU_DEP_2) | instskip(NEXT) | instid1(VALU_DEP_2)
	v_fmac_f16_e32 v70, 0x38b4, v56
	v_fmac_f16_e32 v71, 0xb8b4, v56
	s_wait_dscnt 0x5
	v_lshrrev_b32_e32 v56, 16, v241
	s_delay_alu instid0(VALU_DEP_3) | instskip(NEXT) | instid1(VALU_DEP_3)
	v_fmac_f16_e32 v70, 0x34f2, v37
	v_fmac_f16_e32 v71, 0x34f2, v37
	s_delay_alu instid0(VALU_DEP_2) | instskip(SKIP_1) | instid1(VALU_DEP_3)
	v_pack_b32_f16 v70, v70, v224
	v_add_f16_e64 v224, v58, v243
	v_pack_b32_f16 v37, v71, v72
	s_delay_alu instid0(VALU_DEP_2) | instskip(SKIP_1) | instid1(VALU_DEP_1)
	v_fma_f16 v234, -0.5, v224, v238
	v_add_f16_e64 v224, v61, v36
	v_fma_f16 v245, -0.5, v224, v244
	s_delay_alu instid0(VALU_DEP_3) | instskip(SKIP_1) | instid1(VALU_DEP_3)
	v_fma_f16 v224, 0x3b9c, v246, v234
	v_fmac_f16_e64 v234, 0xbb9c, v246
	v_fma_f16 v225, 0xbb9c, v248, v245
	s_delay_alu instid0(VALU_DEP_3) | instskip(SKIP_1) | instid1(VALU_DEP_4)
	v_fmac_f16_e64 v224, 0x38b4, v247
	v_fmac_f16_e64 v245, 0x3b9c, v248
	v_fmac_f16_e64 v234, 0xb8b4, v247
	s_delay_alu instid0(VALU_DEP_4) | instskip(NEXT) | instid1(VALU_DEP_4)
	v_fmac_f16_e64 v225, 0xb8b4, v249
	v_fmac_f16_e64 v224, 0x34f2, v64
	s_delay_alu instid0(VALU_DEP_4) | instskip(NEXT) | instid1(VALU_DEP_4)
	v_fmac_f16_e64 v245, 0x38b4, v249
	v_fmac_f16_e64 v234, 0x34f2, v64
	s_delay_alu instid0(VALU_DEP_4) | instskip(NEXT) | instid1(VALU_DEP_3)
	v_fmac_f16_e64 v225, 0x34f2, v69
	v_fmac_f16_e64 v245, 0x34f2, v69
	v_lshrrev_b32_e32 v69, 16, v53
	s_delay_alu instid0(VALU_DEP_3)
	v_pack_b32_f16 v224, v224, v225
	s_wait_loadcnt 0x0
	v_lshrrev_b32_e32 v225, 16, v29
	ds_store_2addr_b32 v68, v70, v224 offset0:80 offset1:136
	v_lshrrev_b32_e32 v70, 16, v226
	v_mul_f16_e64 v251, v226, v225
	s_delay_alu instid0(VALU_DEP_2) | instskip(NEXT) | instid1(VALU_DEP_2)
	v_mul_f16_e64 v224, v70, v225
	v_fmac_f16_e64 v251, v70, v29
	v_lshrrev_b32_e32 v70, 16, v236
	s_delay_alu instid0(VALU_DEP_3) | instskip(SKIP_2) | instid1(VALU_DEP_2)
	v_fma_f16 v250, v226, v29, -v224
	v_lshrrev_b32_e32 v224, 16, v31
	v_lshrrev_b32_e32 v226, 16, v235
	v_mul_f16_e64 v253, v235, v224
	s_delay_alu instid0(VALU_DEP_2) | instskip(NEXT) | instid1(VALU_DEP_2)
	v_mul_f16_e64 v227, v226, v224
	v_fmac_f16_e64 v253, v226, v31
	v_lshrrev_b32_e32 v226, 16, v30
	s_delay_alu instid0(VALU_DEP_3) | instskip(SKIP_2) | instid1(VALU_DEP_4)
	v_fma_f16 v252, v235, v31, -v227
	v_lshrrev_b32_e32 v227, 16, v28
	v_lshrrev_b32_e32 v235, 16, v240
	v_mul_f16_e64 v254, v236, v226
	s_delay_alu instid0(VALU_DEP_3) | instskip(NEXT) | instid1(VALU_DEP_2)
	v_mul_f16_e64 v255, v240, v227
	v_fmac_f16_e64 v254, v70, v30
	v_mul_f16_e64 v70, v70, v226
	s_delay_alu instid0(VALU_DEP_3) | instskip(SKIP_1) | instid1(VALU_DEP_4)
	v_fmac_f16_e64 v255, v235, v28
	v_mul_f16_e64 v235, v235, v227
	v_sub_f16_e64 v90, v251, v254
	s_delay_alu instid0(VALU_DEP_4) | instskip(NEXT) | instid1(VALU_DEP_4)
	v_fma_f16 v70, v236, v30, -v70
	v_add_f16_e64 v85, v138, v255
	s_delay_alu instid0(VALU_DEP_4)
	v_fma_f16 v236, v240, v28, -v235
	v_sub_f16_e64 v89, v254, v253
	v_sub_f16_e64 v98, v255, v253
	v_add_f16_e64 v235, v250, v70
	v_sub_f16_e64 v81, v70, v252
	v_add_f16_e64 v80, v239, v236
	v_sub_f16_e64 v94, v250, v70
	v_sub_f16_e64 v101, v236, v252
	v_fma_f16 v240, -0.5, v235, v239
	v_add_f16_e64 v235, v236, v252
	s_delay_alu instid0(VALU_DEP_1) | instskip(SKIP_1) | instid1(VALU_DEP_2)
	v_fmac_f16_e64 v239, -0.5, v235
	v_sub_f16_e64 v235, v250, v236
	v_fma_f16 v93, 0xbb9c, v90, v239
	s_delay_alu instid0(VALU_DEP_2) | instskip(SKIP_2) | instid1(VALU_DEP_4)
	v_add_f16_e64 v81, v235, v81
	v_add_f16_e64 v235, v251, v254
	v_fmac_f16_e64 v239, 0x3b9c, v90
	v_fmac_f16_e32 v93, 0x38b4, v98
	s_delay_alu instid0(VALU_DEP_3) | instskip(SKIP_1) | instid1(VALU_DEP_4)
	v_fma_f16 v84, -0.5, v235, v138
	v_add_f16_e64 v235, v255, v253
	v_fmac_f16_e64 v239, 0xb8b4, v98
	s_delay_alu instid0(VALU_DEP_4) | instskip(NEXT) | instid1(VALU_DEP_3)
	v_fmac_f16_e32 v93, 0x34f2, v81
	v_fmac_f16_e64 v138, -0.5, v235
	v_sub_f16_e64 v235, v251, v255
	s_delay_alu instid0(VALU_DEP_4) | instskip(NEXT) | instid1(VALU_DEP_3)
	v_fmac_f16_e64 v239, 0x34f2, v81
	v_fma_f16 v97, 0x3b9c, v94, v138
	v_fmac_f16_e64 v138, 0xbb9c, v94
	s_delay_alu instid0(VALU_DEP_4) | instskip(SKIP_1) | instid1(VALU_DEP_4)
	v_add_f16_e64 v89, v235, v89
	v_add_f16_e64 v235, v59, v62
	v_fmac_f16_e32 v97, 0xb8b4, v101
	s_delay_alu instid0(VALU_DEP_4) | instskip(NEXT) | instid1(VALU_DEP_3)
	v_fmac_f16_e64 v138, 0x38b4, v101
	v_fma_f16 v235, -0.5, v235, v238
	v_add_f16_e64 v238, v238, v59
	v_sub_f16_e32 v59, v58, v59
	s_delay_alu instid0(VALU_DEP_4) | instskip(SKIP_3) | instid1(VALU_DEP_4)
	v_fmac_f16_e64 v138, 0x34f2, v89
	v_fmac_f16_e32 v97, 0x34f2, v89
	v_fma_f16 v74, 0xbb9c, v247, v235
	v_fmac_f16_e64 v235, 0x3b9c, v247
	v_pack_b32_f16 v138, v239, v138
	v_sub_f16_e64 v239, v243, v62
	s_delay_alu instid0(VALU_DEP_4) | instskip(NEXT) | instid1(VALU_DEP_4)
	v_fmac_f16_e64 v74, 0x38b4, v246
	v_fmac_f16_e64 v235, 0xb8b4, v246
	s_delay_alu instid0(VALU_DEP_3) | instskip(SKIP_2) | instid1(VALU_DEP_3)
	v_add_f16_e64 v59, v59, v239
	v_add_f16_e64 v239, v38, v63
	v_sub_f16_e32 v38, v61, v38
	v_fmac_f16_e64 v235, 0x34f2, v59
	s_delay_alu instid0(VALU_DEP_3) | instskip(NEXT) | instid1(VALU_DEP_3)
	v_fmac_f16_e64 v244, -0.5, v239
	v_add_f16_e32 v38, v38, v73
	v_pack_b32_f16 v73, v228, v229
	v_fmac_f16_e32 v74, 0x34f2, v59
	v_lshrrev_b32_e32 v59, 16, v55
	v_fma_f16 v228, 0x3b9c, v249, v244
	v_fmac_f16_e64 v244, 0xbb9c, v249
	s_delay_alu instid0(VALU_DEP_2) | instskip(NEXT) | instid1(VALU_DEP_2)
	v_fmac_f16_e64 v228, 0xb8b4, v248
	v_fmac_f16_e64 v244, 0x38b4, v248
	s_delay_alu instid0(VALU_DEP_2) | instskip(NEXT) | instid1(VALU_DEP_2)
	v_fmac_f16_e64 v228, 0x34f2, v38
	v_fmac_f16_e64 v244, 0x34f2, v38
	s_delay_alu instid0(VALU_DEP_2) | instskip(NEXT) | instid1(VALU_DEP_2)
	v_pack_b32_f16 v74, v74, v228
	v_pack_b32_f16 v38, v235, v244
	ds_store_2addr_b32 v67, v73, v74 offset0:104 offset1:160
	ds_store_2addr_b32 v66, v231, v38 offset0:128 offset1:184
	v_pack_b32_f16 v38, v234, v245
	ds_store_2addr_b32 v65, v37, v38 offset0:152 offset1:208
	v_add_f16_e64 v37, v238, v58
	v_add_f16_e32 v38, v102, v61
	s_delay_alu instid0(VALU_DEP_2) | instskip(NEXT) | instid1(VALU_DEP_2)
	v_add_f16_e64 v37, v37, v243
	v_add_f16_e32 v36, v38, v36
	v_add_f16_e64 v38, v85, v251
	s_delay_alu instid0(VALU_DEP_3) | instskip(NEXT) | instid1(VALU_DEP_3)
	v_add_f16_e32 v37, v37, v62
	v_add_f16_e32 v36, v36, v63
	s_delay_alu instid0(VALU_DEP_3) | instskip(SKIP_1) | instid1(VALU_DEP_3)
	v_add_f16_e64 v38, v38, v254
	v_lshrrev_b32_e32 v62, 16, v237
	v_pack_b32_f16 v36, v37, v36
	v_add_f16_e64 v37, v80, v250
	s_delay_alu instid0(VALU_DEP_4) | instskip(NEXT) | instid1(VALU_DEP_2)
	v_add_f16_e64 v38, v38, v253
	v_add_f16_e32 v37, v37, v70
	v_sub_f16_e64 v70, v252, v70
	s_delay_alu instid0(VALU_DEP_2) | instskip(NEXT) | instid1(VALU_DEP_1)
	v_add_f16_e64 v37, v37, v252
	v_pack_b32_f16 v37, v37, v38
	ds_store_2addr_b32 v77, v36, v37 offset0:112 offset1:168
	v_lshlrev_b32_e32 v36, 4, v57
	global_load_b128 v[36:39], v36, s[2:3] offset:1112
	s_add_nc_u64 s[2:3], s[12:13], 0x15e0
	s_wait_loadcnt 0x0
	v_lshrrev_b32_e32 v230, 16, v36
	v_lshrrev_b32_e32 v231, 16, v37
	;; [unrolled: 1-line block ×4, first 2 shown]
	s_delay_alu instid0(VALU_DEP_4) | instskip(NEXT) | instid1(VALU_DEP_4)
	v_mul_f16_e64 v58, v241, v230
	v_mul_f16_e64 v61, v59, v231
	;; [unrolled: 1-line block ×5, first 2 shown]
	v_fmac_f16_e32 v58, v56, v36
	v_fma_f16 v61, v55, v37, -v61
	v_mul_f16_e64 v55, v55, v231
	s_wait_dscnt 0x6
	v_lshrrev_b32_e32 v56, 16, v242
	v_fma_f16 v63, v237, v38, -v63
	v_fmac_f16_e32 v64, v62, v38
	v_mul_f16_e64 v62, v242, v228
	v_fmac_f16_e32 v55, v59, v37
	v_mul_f16_e64 v59, v56, v228
	v_fma_f16 v57, v241, v36, -v57
	v_add_f16_e32 v73, v69, v58
	v_fmac_f16_e32 v62, v56, v39
	v_add_f16_e32 v56, v61, v63
	v_fma_f16 v59, v242, v39, -v59
	v_add_f16_e32 v71, v53, v57
	v_sub_f16_e32 v80, v61, v63
	v_sub_f16_e32 v74, v64, v62
	v_fma_f16 v234, -0.5, v56, v53
	v_add_f16_e32 v56, v57, v59
	v_sub_f16_e32 v72, v63, v59
	v_sub_f16_e32 v76, v58, v62
	;; [unrolled: 1-line block ×3, first 2 shown]
	v_fma_f16 v237, 0x3b9c, v98, v240
	v_fmac_f16_e32 v53, -0.5, v56
	v_sub_f16_e32 v56, v61, v57
	v_fmac_f16_e64 v240, 0xbb9c, v98
	v_sub_f16_e32 v57, v57, v61
	v_fmac_f16_e64 v237, 0x38b4, v90
	v_add_f16_e32 v61, v71, v61
	v_add_f16_e32 v56, v56, v72
	;; [unrolled: 1-line block ×3, first 2 shown]
	v_fmac_f16_e64 v240, 0xb8b4, v90
	v_fmamk_f16 v90, v101, 0xbb9c, v84
	v_add_f16_e32 v61, v61, v63
	v_fmac_f16_e32 v84, 0x3b9c, v101
	v_fma_f16 v235, -0.5, v72, v69
	v_add_f16_e32 v72, v58, v62
	v_fmac_f16_e32 v90, 0xb8b4, v94
	s_delay_alu instid0(VALU_DEP_4) | instskip(NEXT) | instid1(VALU_DEP_3)
	v_fmac_f16_e32 v84, 0x38b4, v94
	v_fmac_f16_e32 v69, -0.5, v72
	v_sub_f16_e32 v72, v55, v58
	v_sub_f16_e32 v58, v58, v55
	s_delay_alu instid0(VALU_DEP_3) | instskip(NEXT) | instid1(VALU_DEP_3)
	v_fmamk_f16 v85, v80, 0x3b9c, v69
	v_add_f16_e32 v72, v72, v74
	v_sub_f16_e32 v74, v55, v64
	v_fmac_f16_e32 v69, 0xbb9c, v80
	v_add_f16_e32 v55, v73, v55
	v_fmac_f16_e32 v85, 0xb8b4, v102
	s_delay_alu instid0(VALU_DEP_4)
	v_fmamk_f16 v75, v74, 0xbb9c, v53
	v_fmac_f16_e32 v53, 0x3b9c, v74
	v_fmac_f16_e32 v69, 0x38b4, v102
	v_add_f16_e32 v55, v55, v64
	v_fmac_f16_e32 v85, 0x34f2, v72
	v_fmac_f16_e32 v75, 0x38b4, v76
	;; [unrolled: 1-line block ×4, first 2 shown]
	v_add_f16_e32 v55, v55, v62
	s_delay_alu instid0(VALU_DEP_4) | instskip(NEXT) | instid1(VALU_DEP_4)
	v_fmac_f16_e32 v75, 0x34f2, v56
	v_fmac_f16_e32 v53, 0x34f2, v56
	s_delay_alu instid0(VALU_DEP_1) | instskip(SKIP_2) | instid1(VALU_DEP_2)
	v_pack_b32_f16 v53, v53, v69
	v_sub_f16_e64 v69, v236, v250
	v_sub_f16_e64 v236, v253, v254
	v_add_f16_e32 v69, v69, v70
	v_sub_f16_e64 v70, v255, v251
	s_delay_alu instid0(VALU_DEP_2)
	v_fmac_f16_e64 v237, 0x34f2, v69
	v_fmac_f16_e64 v240, 0x34f2, v69
	v_sub_f16_e32 v69, v59, v63
	v_add_f16_e32 v59, v61, v59
	v_fma_f16 v61, 0x3b9c, v76, v234
	v_add_f16_e64 v70, v70, v236
	v_fmac_f16_e64 v234, 0xbb9c, v76
	v_add_f16_e32 v57, v57, v69
	v_sub_f16_e32 v69, v62, v64
	v_fma_f16 v64, 0xbb9c, v102, v235
	v_fmac_f16_e64 v235, 0x3b9c, v102
	v_fmac_f16_e32 v61, 0x38b4, v74
	v_fmac_f16_e32 v84, 0x34f2, v70
	v_add_f16_e32 v58, v58, v69
	v_fmac_f16_e32 v64, 0xb8b4, v80
	v_fmac_f16_e64 v234, 0xb8b4, v74
	v_fmac_f16_e64 v235, 0x38b4, v80
	v_fmac_f16_e32 v90, 0x34f2, v70
	v_fmac_f16_e32 v61, 0x34f2, v57
	;; [unrolled: 1-line block ×3, first 2 shown]
	v_pack_b32_f16 v69, v93, v97
	v_pack_b32_f16 v70, v240, v84
	v_fmac_f16_e64 v234, 0x34f2, v57
	v_fmac_f16_e64 v235, 0x34f2, v58
	v_pack_b32_f16 v63, v237, v90
	v_pack_b32_f16 v56, v61, v64
	;; [unrolled: 1-line block ×4, first 2 shown]
	ds_store_b32 v77, v69 offset:2912
	ds_store_b32 v77, v138 offset:4032
	v_pack_b32_f16 v58, v234, v235
	ds_store_b32 v77, v70 offset:5152
	ds_store_2addr_b32 v68, v63, v56 offset0:192 offset1:248
	ds_store_b32 v77, v55 offset:896
	ds_store_b32 v77, v57 offset:3136
	;; [unrolled: 1-line block ×4, first 2 shown]
	global_wb scope:SCOPE_SE
	s_wait_dscnt 0x0
	s_barrier_signal -1
	s_barrier_wait -1
	global_inv scope:SCOPE_SE
	global_load_b32 v57, v[40:41], off offset:5600
	v_lshlrev_b32_e32 v53, 2, v117
	s_clause 0x6
	global_load_b32 v71, v53, s[2:3] offset:224
	global_load_b32 v72, v53, s[2:3] offset:448
	;; [unrolled: 1-line block ×7, first 2 shown]
	ds_load_2addr_b32 v[55:56], v77 offset1:56
	s_wait_dscnt 0x0
	v_lshrrev_b32_e32 v59, 16, v55
	s_wait_loadcnt 0x7
	v_lshrrev_b32_e32 v58, 16, v57
	s_delay_alu instid0(VALU_DEP_1) | instskip(NEXT) | instid1(VALU_DEP_3)
	v_mul_f16_e32 v61, v55, v58
	v_mul_f16_e32 v58, v59, v58
	s_delay_alu instid0(VALU_DEP_2) | instskip(NEXT) | instid1(VALU_DEP_2)
	v_fmac_f16_e32 v61, v59, v57
	v_fma_f16 v55, v55, v57, -v58
	s_delay_alu instid0(VALU_DEP_1)
	v_pack_b32_f16 v55, v55, v61
	ds_store_b32 v77, v55
	s_clause 0x3
	global_load_b32 v55, v53, s[2:3] offset:3024
	global_load_b32 v59, v53, s[2:3] offset:3248
	;; [unrolled: 1-line block ×4, first 2 shown]
	ds_load_2addr_b32 v[57:58], v67 offset0:188 offset1:244
	s_wait_dscnt 0x0
	v_lshrrev_b32_e32 v62, 16, v58
	s_wait_loadcnt 0x3
	v_lshrrev_b32_e32 v61, 16, v55
	s_wait_loadcnt 0x2
	v_lshrrev_b32_e32 v69, 16, v59
	s_delay_alu instid0(VALU_DEP_2) | instskip(SKIP_1) | instid1(VALU_DEP_2)
	v_mul_f16_e32 v63, v58, v61
	v_mul_f16_e32 v64, v62, v61
	v_fmac_f16_e32 v63, v62, v55
	ds_load_2addr_b32 v[61:62], v66 offset0:44 offset1:100
	v_fma_f16 v55, v58, v55, -v64
	s_delay_alu instid0(VALU_DEP_1) | instskip(SKIP_3) | instid1(VALU_DEP_2)
	v_pack_b32_f16 v55, v55, v63
	s_wait_dscnt 0x0
	v_lshrrev_b32_e32 v70, 16, v61
	v_mul_f16_e32 v85, v61, v69
	v_mul_f16_e32 v69, v70, v69
	s_delay_alu instid0(VALU_DEP_2) | instskip(NEXT) | instid1(VALU_DEP_2)
	v_fmac_f16_e32 v85, v70, v59
	v_fma_f16 v58, v61, v59, -v69
	v_add_nc_u32_e32 v59, 0xa00, v77
	s_delay_alu instid0(VALU_DEP_2)
	v_pack_b32_f16 v58, v58, v85
	ds_store_2addr_b32 v59, v55, v58 offset0:116 offset1:172
	s_clause 0x7
	global_load_b32 v55, v53, s[2:3] offset:3920
	global_load_b32 v61, v53, s[2:3] offset:4144
	;; [unrolled: 1-line block ×8, first 2 shown]
	ds_load_2addr_b32 v[58:59], v66 offset0:156 offset1:212
	s_wait_dscnt 0x0
	v_lshrrev_b32_e32 v64, 16, v59
	s_wait_loadcnt 0x7
	v_lshrrev_b32_e32 v63, 16, v55
	s_wait_loadcnt 0x6
	v_lshrrev_b32_e32 v98, 16, v61
	s_delay_alu instid0(VALU_DEP_2) | instskip(SKIP_1) | instid1(VALU_DEP_2)
	v_mul_f16_e32 v69, v59, v63
	v_mul_f16_e32 v70, v64, v63
	v_fmac_f16_e32 v69, v64, v55
	ds_load_2addr_b32 v[63:64], v65 offset0:12 offset1:68
	v_fma_f16 v55, v59, v55, -v70
	s_delay_alu instid0(VALU_DEP_1) | instskip(SKIP_3) | instid1(VALU_DEP_2)
	v_pack_b32_f16 v55, v55, v69
	s_wait_dscnt 0x0
	v_lshrrev_b32_e32 v101, 16, v63
	v_mul_f16_e32 v102, v63, v98
	v_mul_f16_e32 v98, v101, v98
	s_delay_alu instid0(VALU_DEP_2) | instskip(NEXT) | instid1(VALU_DEP_2)
	v_fmac_f16_e32 v102, v101, v61
	v_fma_f16 v59, v63, v61, -v98
	s_delay_alu instid0(VALU_DEP_1)
	v_pack_b32_f16 v59, v59, v102
	ds_store_2addr_b32 v54, v55, v59 offset0:84 offset1:140
	s_clause 0x3
	global_load_b32 v59, v53, s[2:3] offset:2016
	global_load_b32 v61, v53, s[2:3] offset:2240
	;; [unrolled: 1-line block ×4, first 2 shown]
	ds_load_2addr_b32 v[54:55], v68 offset0:192 offset1:248
	s_wait_dscnt 0x0
	v_lshrrev_b32_e32 v70, 16, v55
	s_wait_loadcnt 0x3
	v_lshrrev_b32_e32 v69, 16, v59
	s_wait_loadcnt 0x2
	v_lshrrev_b32_e32 v138, 16, v61
	s_delay_alu instid0(VALU_DEP_2) | instskip(SKIP_1) | instid1(VALU_DEP_2)
	v_mul_f16_e32 v101, v55, v69
	v_mul_f16_e32 v102, v70, v69
	v_fmac_f16_e32 v101, v70, v59
	ds_load_2addr_b32 v[69:70], v67 offset0:48 offset1:104
	v_fma_f16 v55, v55, v59, -v102
	s_delay_alu instid0(VALU_DEP_1) | instskip(SKIP_3) | instid1(VALU_DEP_2)
	v_pack_b32_f16 v55, v55, v101
	s_wait_dscnt 0x0
	v_lshrrev_b32_e32 v236, 16, v69
	v_mul_f16_e64 v237, v69, v138
	v_mul_f16_e64 v138, v236, v138
	s_delay_alu instid0(VALU_DEP_2) | instskip(NEXT) | instid1(VALU_DEP_2)
	v_fmac_f16_e64 v237, v236, v61
	v_fma_f16 v59, v69, v61, -v138
	v_add_nc_u32_e32 v61, 0x600, v77
	s_delay_alu instid0(VALU_DEP_2) | instskip(SKIP_3) | instid1(VALU_DEP_1)
	v_pack_b32_f16 v59, v59, v237
	ds_store_2addr_b32 v61, v55, v59 offset0:120 offset1:176
	v_lshrrev_b32_e32 v55, 16, v56
	v_lshrrev_b32_e32 v59, 16, v71
	v_mul_f16_e32 v61, v55, v59
	v_mul_f16_e32 v59, v56, v59
	s_delay_alu instid0(VALU_DEP_2) | instskip(NEXT) | instid1(VALU_DEP_2)
	v_fma_f16 v61, v56, v71, -v61
	v_fmac_f16_e32 v59, v55, v71
	v_lshrrev_b32_e32 v55, 16, v84
	v_lshrrev_b32_e32 v56, 16, v57
	s_delay_alu instid0(VALU_DEP_3) | instskip(NEXT) | instid1(VALU_DEP_3)
	v_pack_b32_f16 v59, v61, v59
	v_mul_f16_e32 v71, v57, v55
	s_delay_alu instid0(VALU_DEP_3) | instskip(NEXT) | instid1(VALU_DEP_2)
	v_mul_f16_e32 v69, v56, v55
	v_fmac_f16_e32 v71, v56, v84
	ds_load_2addr_b32 v[55:56], v77 offset0:112 offset1:168
	v_fma_f16 v57, v57, v84, -v69
	v_lshrrev_b32_e32 v69, 16, v72
	s_wait_dscnt 0x0
	v_lshrrev_b32_e32 v84, 16, v55
	s_delay_alu instid0(VALU_DEP_2) | instskip(NEXT) | instid1(VALU_DEP_2)
	v_mul_f16_e32 v101, v55, v69
	v_mul_f16_e32 v69, v84, v69
	s_delay_alu instid0(VALU_DEP_2) | instskip(NEXT) | instid1(VALU_DEP_2)
	v_fmac_f16_e32 v101, v84, v72
	v_fma_f16 v69, v55, v72, -v69
	v_lshrrev_b32_e32 v55, 16, v73
	v_lshrrev_b32_e32 v72, 16, v56
	s_delay_alu instid0(VALU_DEP_3) | instskip(NEXT) | instid1(VALU_DEP_3)
	v_pack_b32_f16 v61, v69, v101
	v_mul_f16_e32 v102, v56, v55
	s_delay_alu instid0(VALU_DEP_3)
	v_mul_f16_e32 v84, v72, v55
	v_lshrrev_b32_e32 v55, 16, v81
	ds_store_2addr_b32 v77, v59, v61 offset0:56 offset1:112
	v_fmac_f16_e32 v102, v72, v73
	v_fma_f16 v84, v56, v73, -v84
	v_lshrrev_b32_e32 v56, 16, v62
	v_mul_f16_e32 v73, v62, v55
	s_delay_alu instid0(VALU_DEP_3) | instskip(NEXT) | instid1(VALU_DEP_3)
	v_pack_b32_f16 v59, v84, v102
	v_mul_f16_e32 v72, v56, v55
	v_lshrrev_b32_e32 v55, 16, v97
	s_delay_alu instid0(VALU_DEP_4) | instskip(SKIP_1) | instid1(VALU_DEP_4)
	v_fmac_f16_e32 v73, v56, v81
	v_lshrrev_b32_e32 v56, 16, v58
	v_fma_f16 v62, v62, v81, -v72
	s_delay_alu instid0(VALU_DEP_4) | instskip(NEXT) | instid1(VALU_DEP_3)
	v_mul_f16_e32 v81, v58, v55
	v_mul_f16_e32 v72, v56, v55
	s_delay_alu instid0(VALU_DEP_2) | instskip(SKIP_3) | instid1(VALU_DEP_2)
	v_fmac_f16_e32 v81, v56, v97
	ds_load_2addr_b32 v[55:56], v60 offset0:96 offset1:152
	v_fma_f16 v58, v58, v97, -v72
	v_lshrrev_b32_e32 v72, 16, v74
	v_pack_b32_f16 v58, v58, v81
	s_wait_dscnt 0x0
	v_lshrrev_b32_e32 v97, 16, v55
	s_delay_alu instid0(VALU_DEP_3) | instskip(NEXT) | instid1(VALU_DEP_2)
	v_mul_f16_e64 v138, v55, v72
	v_mul_f16_e32 v72, v97, v72
	s_delay_alu instid0(VALU_DEP_2) | instskip(NEXT) | instid1(VALU_DEP_2)
	v_fmac_f16_e64 v138, v97, v74
	v_fma_f16 v72, v55, v74, -v72
	v_lshrrev_b32_e32 v55, 16, v75
	v_lshrrev_b32_e32 v74, 16, v56
	s_delay_alu instid0(VALU_DEP_3) | instskip(NEXT) | instid1(VALU_DEP_3)
	v_pack_b32_f16 v61, v72, v138
	v_mul_f16_e64 v236, v56, v55
	s_delay_alu instid0(VALU_DEP_3)
	v_mul_f16_e32 v97, v74, v55
	ds_store_2addr_b32 v77, v59, v61 offset0:168 offset1:224
	v_fmac_f16_e64 v236, v74, v75
	v_fma_f16 v97, v56, v75, -v97
	ds_load_2addr_b32 v[55:56], v68 offset0:80 offset1:136
	v_lshrrev_b32_e32 v74, 16, v76
	v_pack_b32_f16 v59, v62, v73
	ds_store_2addr_b32 v66, v59, v58 offset0:100 offset1:156
	v_pack_b32_f16 v58, v97, v236
	s_wait_dscnt 0x1
	v_lshrrev_b32_e32 v75, 16, v55
	v_mul_f16_e64 v237, v55, v74
	s_delay_alu instid0(VALU_DEP_2) | instskip(NEXT) | instid1(VALU_DEP_2)
	v_mul_f16_e32 v74, v75, v74
	v_fmac_f16_e64 v237, v75, v76
	v_lshrrev_b32_e32 v75, 16, v56
	s_delay_alu instid0(VALU_DEP_3) | instskip(SKIP_1) | instid1(VALU_DEP_2)
	v_fma_f16 v74, v55, v76, -v74
	v_lshrrev_b32_e32 v55, 16, v80
	v_pack_b32_f16 v59, v74, v237
	s_delay_alu instid0(VALU_DEP_2)
	v_mul_f16_e32 v76, v75, v55
	v_mul_f16_e64 v238, v56, v55
	v_lshrrev_b32_e32 v55, 16, v85
	ds_store_2addr_b32 v68, v58, v59 offset0:24 offset1:80
	v_fma_f16 v56, v56, v80, -v76
	v_fmac_f16_e64 v238, v75, v80
	v_lshrrev_b32_e32 v75, 16, v64
	v_mul_f16_e32 v80, v64, v55
	s_delay_alu instid0(VALU_DEP_3) | instskip(NEXT) | instid1(VALU_DEP_3)
	v_pack_b32_f16 v56, v56, v238
	v_mul_f16_e32 v76, v75, v55
	s_delay_alu instid0(VALU_DEP_3) | instskip(SKIP_4) | instid1(VALU_DEP_3)
	v_fmac_f16_e32 v80, v75, v85
	s_wait_loadcnt 0x0
	v_lshrrev_b32_e32 v55, 16, v98
	v_lshrrev_b32_e32 v75, 16, v54
	v_fma_f16 v64, v64, v85, -v76
	v_mul_f16_e32 v85, v54, v55
	s_delay_alu instid0(VALU_DEP_3) | instskip(NEXT) | instid1(VALU_DEP_2)
	v_mul_f16_e32 v76, v75, v55
	v_fmac_f16_e32 v85, v75, v98
	s_delay_alu instid0(VALU_DEP_2)
	v_fma_f16 v76, v54, v98, -v76
	ds_load_2addr_b32 v[54:55], v65 offset0:124 offset1:180
	v_lshrrev_b32_e32 v75, 16, v89
	v_pack_b32_f16 v58, v76, v85
	ds_store_2addr_b32 v68, v56, v58 offset0:136 offset1:192
	v_pack_b32_f16 v56, v64, v80
	s_wait_dscnt 0x1
	v_lshrrev_b32_e32 v98, 16, v54
	v_mul_f16_e64 v239, v54, v75
	s_delay_alu instid0(VALU_DEP_2) | instskip(NEXT) | instid1(VALU_DEP_2)
	v_mul_f16_e32 v75, v98, v75
	v_fmac_f16_e64 v239, v98, v89
	s_delay_alu instid0(VALU_DEP_2) | instskip(SKIP_2) | instid1(VALU_DEP_3)
	v_fma_f16 v75, v54, v89, -v75
	v_lshrrev_b32_e32 v54, 16, v90
	v_lshrrev_b32_e32 v89, 16, v55
	v_pack_b32_f16 v58, v75, v239
	s_delay_alu instid0(VALU_DEP_3) | instskip(NEXT) | instid1(VALU_DEP_3)
	v_mul_f16_e64 v240, v55, v54
	v_mul_f16_e32 v98, v89, v54
	v_lshrrev_b32_e32 v54, 16, v63
	ds_store_2addr_b32 v65, v56, v58 offset0:68 offset1:124
	v_fmac_f16_e64 v240, v89, v90
	v_fma_f16 v98, v55, v90, -v98
	v_lshrrev_b32_e32 v55, 16, v70
	v_mul_f16_e32 v90, v70, v54
	s_delay_alu instid0(VALU_DEP_3) | instskip(NEXT) | instid1(VALU_DEP_3)
	v_pack_b32_f16 v56, v98, v240
	v_mul_f16_e32 v89, v55, v54
	s_delay_alu instid0(VALU_DEP_3)
	v_fmac_f16_e32 v90, v55, v63
	ds_load_2addr_b32 v[54:55], v233 offset0:108 offset1:164
	v_fma_f16 v70, v70, v63, -v89
	v_lshrrev_b32_e32 v63, 16, v93
	s_wait_dscnt 0x0
	v_lshrrev_b32_e32 v89, 16, v54
	s_delay_alu instid0(VALU_DEP_2) | instskip(NEXT) | instid1(VALU_DEP_2)
	v_mul_f16_e64 v241, v54, v63
	v_mul_f16_e32 v63, v89, v63
	s_delay_alu instid0(VALU_DEP_2) | instskip(SKIP_1) | instid1(VALU_DEP_3)
	v_fmac_f16_e64 v241, v89, v93
	v_lshrrev_b32_e32 v89, 16, v55
	v_fma_f16 v54, v54, v93, -v63
	v_lshrrev_b32_e32 v63, 16, v94
	s_delay_alu instid0(VALU_DEP_2) | instskip(NEXT) | instid1(VALU_DEP_2)
	v_pack_b32_f16 v54, v54, v241
	v_mul_f16_e32 v93, v89, v63
	v_mul_f16_e32 v63, v55, v63
	ds_store_2addr_b32 v65, v56, v54 offset0:180 offset1:236
	v_fma_f16 v55, v55, v94, -v93
	v_fmac_f16_e32 v63, v89, v94
	v_pack_b32_f16 v54, v57, v71
	v_pack_b32_f16 v56, v70, v90
	ds_store_2addr_b32 v67, v56, v54 offset0:104 offset1:188
	v_pack_b32_f16 v54, v55, v63
	ds_store_b32 v77, v54 offset:5264
	s_and_saveexec_b32 s1, vcc_lo
	s_cbranch_execz .LBB0_21
; %bb.20:
	s_wait_alu 0xfffe
	v_add_co_u32 v53, s2, s2, v53
	s_wait_alu 0xf1ff
	v_add_co_ci_u32_e64 v54, null, s3, 0, s2
	s_clause 0x1
	global_load_b32 v55, v[53:54], off offset:2688
	global_load_b32 v53, v[53:54], off offset:5488
	ds_load_b32 v54, v77 offset:2688
	ds_load_b32 v56, v77 offset:5488
	s_wait_dscnt 0x1
	v_lshrrev_b32_e32 v57, 16, v54
	s_wait_dscnt 0x0
	v_lshrrev_b32_e32 v59, 16, v56
	s_wait_loadcnt 0x1
	v_lshrrev_b32_e32 v58, 16, v55
	s_wait_loadcnt 0x0
	v_lshrrev_b32_e32 v61, 16, v53
	s_delay_alu instid0(VALU_DEP_2) | instskip(SKIP_1) | instid1(VALU_DEP_3)
	v_mul_f16_e32 v62, v57, v58
	v_mul_f16_e32 v58, v54, v58
	;; [unrolled: 1-line block ×4, first 2 shown]
	s_delay_alu instid0(VALU_DEP_4) | instskip(NEXT) | instid1(VALU_DEP_4)
	v_fma_f16 v54, v54, v55, -v62
	v_fmac_f16_e32 v58, v57, v55
	s_delay_alu instid0(VALU_DEP_4) | instskip(NEXT) | instid1(VALU_DEP_4)
	v_fma_f16 v55, v56, v53, -v63
	v_fmac_f16_e32 v61, v59, v53
	s_delay_alu instid0(VALU_DEP_3) | instskip(NEXT) | instid1(VALU_DEP_2)
	v_pack_b32_f16 v53, v54, v58
	v_pack_b32_f16 v54, v55, v61
	ds_store_b32 v77, v53 offset:2688
	ds_store_b32 v77, v54 offset:5488
.LBB0_21:
	s_wait_alu 0xfffe
	s_or_b32 exec_lo, exec_lo, s1
	global_wb scope:SCOPE_SE
	s_wait_dscnt 0x0
	s_barrier_signal -1
	s_barrier_wait -1
	global_inv scope:SCOPE_SE
	ds_load_2addr_b32 v[63:64], v77 offset1:56
	ds_load_2addr_b32 v[69:70], v67 offset0:188 offset1:244
	ds_load_2addr_b32 v[61:62], v77 offset0:112 offset1:168
	;; [unrolled: 1-line block ×11, first 2 shown]
	v_lshlrev_b32_e32 v238, 2, v152
	v_lshlrev_b32_e32 v237, 2, v153
	;; [unrolled: 1-line block ×6, first 2 shown]
	s_and_saveexec_b32 s1, vcc_lo
	s_cbranch_execz .LBB0_23
; %bb.22:
	ds_load_b32 v234, v77 offset:2688
	ds_load_b32 v51, v77 offset:5488
	s_wait_dscnt 0x1
	v_lshrrev_b32_e32 v235, 16, v234
	s_wait_dscnt 0x0
	v_lshrrev_b32_e32 v232, 16, v51
.LBB0_23:
	s_wait_alu 0xfffe
	s_or_b32 exec_lo, exec_lo, s1
	s_wait_dscnt 0xa
	v_pk_add_f16 v69, v63, v69 neg_lo:[0,1] neg_hi:[0,1]
	v_pk_add_f16 v240, v64, v70 neg_lo:[0,1] neg_hi:[0,1]
	s_wait_dscnt 0x8
	v_pk_add_f16 v70, v61, v71 neg_lo:[0,1] neg_hi:[0,1]
	s_wait_dscnt 0x0
	v_pk_add_f16 v246, v54, v68 neg_lo:[0,1] neg_hi:[0,1]
	v_pk_add_f16 v72, v62, v72 neg_lo:[0,1] neg_hi:[0,1]
	v_pk_fma_f16 v68, v63, 2.0, v69 op_sel_hi:[1,0,1] neg_lo:[0,0,1] neg_hi:[0,0,1]
	v_pk_fma_f16 v239, v64, 2.0, v240 op_sel_hi:[1,0,1] neg_lo:[0,0,1] neg_hi:[0,0,1]
	v_pk_add_f16 v241, v59, v73 neg_lo:[0,1] neg_hi:[0,1]
	v_pk_add_f16 v74, v60, v74 neg_lo:[0,1] neg_hi:[0,1]
	v_pk_add_f16 v243, v57, v75 neg_lo:[0,1] neg_hi:[0,1]
	v_pk_add_f16 v75, v58, v76 neg_lo:[0,1] neg_hi:[0,1]
	v_sub_f16_e64 v153, v234, v51
	v_sub_f16_e64 v154, v235, v232
	global_wb scope:SCOPE_SE
	s_barrier_signal -1
	s_barrier_wait -1
	global_inv scope:SCOPE_SE
	ds_store_b64 v133, v[68:69]
	ds_store_b64 v135, v[239:240]
	v_pk_fma_f16 v69, v61, 2.0, v70 op_sel_hi:[1,0,1] neg_lo:[0,0,1] neg_hi:[0,0,1]
	v_pk_add_f16 v65, v55, v65 neg_lo:[0,1] neg_hi:[0,1]
	v_pk_fma_f16 v71, v62, 2.0, v72 op_sel_hi:[1,0,1] neg_lo:[0,0,1] neg_hi:[0,0,1]
	v_pk_add_f16 v244, v56, v66 neg_lo:[0,1] neg_hi:[0,1]
	;; [unrolled: 2-line block ×3, first 2 shown]
	v_pk_fma_f16 v73, v60, 2.0, v74 op_sel_hi:[1,0,1] neg_lo:[0,0,1] neg_hi:[0,0,1]
	v_pk_fma_f16 v242, v57, 2.0, v243 op_sel_hi:[1,0,1] neg_lo:[0,0,1] neg_hi:[0,0,1]
	v_fma_f16 v51, v234, 2.0, -v153
	v_fma_f16 v152, v235, 2.0, -v154
	ds_store_b64 v132, v[69:70]
	ds_store_b64 v134, v[71:72]
	;; [unrolled: 1-line block ×5, first 2 shown]
	v_pk_fma_f16 v74, v58, 2.0, v75 op_sel_hi:[1,0,1] neg_lo:[0,0,1] neg_hi:[0,0,1]
	v_pk_fma_f16 v64, v55, 2.0, v65 op_sel_hi:[1,0,1] neg_lo:[0,0,1] neg_hi:[0,0,1]
	;; [unrolled: 1-line block ×5, first 2 shown]
	ds_store_b64 v236, v[74:75]
	ds_store_b64 v136, v[64:65]
	;; [unrolled: 1-line block ×5, first 2 shown]
	s_and_saveexec_b32 s1, vcc_lo
	s_cbranch_execz .LBB0_25
; %bb.24:
	scratch_load_b32 v55, off, off th:TH_LOAD_LU ; 4-byte Folded Reload
	v_perm_b32 v54, v154, v153, 0x5040100
	v_perm_b32 v53, v152, v51, 0x5040100
	s_wait_loadcnt 0x0
	ds_store_b64 v55, v[53:54]
.LBB0_25:
	s_wait_alu 0xfffe
	s_or_b32 exec_lo, exec_lo, s1
	v_add_nc_u32_e32 v53, 0x800, v77
	v_add_nc_u32_e32 v54, 0xc00, v77
	;; [unrolled: 1-line block ×6, first 2 shown]
	global_wb scope:SCOPE_SE
	s_wait_dscnt 0x0
	s_barrier_signal -1
	s_barrier_wait -1
	global_inv scope:SCOPE_SE
	ds_load_2addr_b32 v[63:64], v77 offset1:56
	ds_load_2addr_b32 v[75:76], v53 offset0:188 offset1:244
	ds_load_2addr_b32 v[61:62], v77 offset0:112 offset1:168
	;; [unrolled: 1-line block ×11, first 2 shown]
	s_and_saveexec_b32 s1, vcc_lo
	s_cbranch_execz .LBB0_27
; %bb.26:
	ds_load_b32 v51, v77 offset:2688
	ds_load_b32 v153, v77 offset:5488
	s_wait_dscnt 0x1
	v_lshrrev_b32_e32 v152, 16, v51
	s_wait_dscnt 0x0
	v_lshrrev_b32_e32 v154, 16, v153
.LBB0_27:
	s_wait_alu 0xfffe
	s_or_b32 exec_lo, exec_lo, s1
	s_wait_dscnt 0xa
	v_lshrrev_b32_e32 v81, 16, v75
	v_lshrrev_b32_e32 v85, 16, v76
	s_wait_dscnt 0x8
	v_lshrrev_b32_e32 v90, 16, v73
	v_lshrrev_b32_e32 v94, 16, v74
	s_wait_dscnt 0x6
	v_lshrrev_b32_e32 v102, 16, v72
	v_mul_f16_e64 v157, v158, v81
	v_mul_f16_e64 v233, v158, v75
	;; [unrolled: 1-line block ×4, first 2 shown]
	v_lshrrev_b32_e32 v98, 16, v71
	v_fmac_f16_e64 v157, v130, v75
	v_mul_f16_e64 v75, v158, v85
	s_wait_dscnt 0x4
	v_lshrrev_b32_e32 v133, 16, v69
	v_fma_f16 v81, v130, v81, -v233
	v_mul_f16_e64 v233, v158, v76
	v_fmac_f16_e64 v236, v130, v73
	v_fmac_f16_e64 v75, v130, v76
	v_mul_f16_e64 v76, v158, v94
	v_fma_f16 v73, v130, v90, -v237
	v_mul_f16_e64 v90, v158, v74
	v_mul_f16_e64 v237, v158, v102
	v_lshrrev_b32_e32 v135, 16, v70
	s_wait_dscnt 0x2
	v_lshrrev_b32_e32 v137, 16, v67
	v_fma_f16 v85, v130, v85, -v233
	v_fmac_f16_e64 v76, v130, v74
	v_mul_f16_e64 v74, v158, v98
	v_mul_f16_e64 v233, v158, v71
	v_fma_f16 v90, v130, v94, -v90
	v_mul_f16_e64 v94, v158, v72
	v_fmac_f16_e64 v237, v130, v72
	v_mul_f16_e64 v72, v158, v133
	v_lshrrev_b32_e32 v155, 16, v68
	s_wait_dscnt 0x0
	v_lshrrev_b32_e32 v232, 16, v65
	v_fmac_f16_e64 v74, v130, v71
	v_fma_f16 v71, v130, v98, -v233
	v_fma_f16 v94, v130, v102, -v94
	v_mul_f16_e64 v98, v158, v69
	v_mul_f16_e64 v102, v158, v135
	;; [unrolled: 1-line block ×3, first 2 shown]
	v_fmac_f16_e64 v72, v130, v69
	v_mul_f16_e64 v69, v158, v137
	v_lshrrev_b32_e32 v235, 16, v66
	v_fma_f16 v98, v130, v133, -v98
	v_fmac_f16_e64 v102, v130, v70
	v_fma_f16 v70, v130, v135, -v233
	v_mul_f16_e64 v133, v158, v67
	v_fmac_f16_e64 v69, v130, v67
	v_mul_f16_e64 v67, v158, v155
	v_mul_f16_e64 v135, v158, v68
	;; [unrolled: 1-line block ×3, first 2 shown]
	v_lshrrev_b32_e32 v80, 16, v63
	v_lshrrev_b32_e32 v134, 16, v58
	v_fma_f16 v133, v130, v137, -v133
	v_mul_f16_e64 v137, v158, v65
	v_fmac_f16_e64 v67, v130, v68
	v_fma_f16 v68, v130, v155, -v135
	v_fmac_f16_e64 v233, v130, v65
	v_mul_f16_e64 v65, v158, v235
	v_mul_f16_e64 v155, v158, v154
	v_lshrrev_b32_e32 v84, 16, v64
	v_lshrrev_b32_e32 v89, 16, v61
	v_fma_f16 v135, v130, v232, -v137
	v_mul_f16_e64 v137, v158, v66
	v_mul_f16_e64 v158, v158, v153
	v_fmac_f16_e64 v65, v130, v66
	v_sub_f16_e64 v66, v63, v157
	v_fmac_f16_e64 v155, v130, v153
	v_sub_f16_e32 v81, v80, v81
	v_sub_f16_e64 v70, v134, v70
	v_lshrrev_b32_e32 v93, 16, v62
	v_sub_f16_e32 v75, v64, v75
	v_sub_f16_e32 v85, v84, v85
	v_lshrrev_b32_e32 v97, 16, v59
	v_lshrrev_b32_e32 v101, 16, v60
	;; [unrolled: 1-line block ×4, first 2 shown]
	v_fma_f16 v137, v130, v235, -v137
	v_fma_f16 v130, v130, v154, -v158
	v_fma_f16 v63, v63, 2.0, -v66
	v_sub_f16_e64 v153, v61, v236
	v_fma_f16 v80, v80, 2.0, -v81
	v_sub_f16_e32 v73, v89, v73
	v_fma_f16 v158, v134, 2.0, -v70
	v_sub_f16_e64 v134, v51, v155
	v_fma_f16 v64, v64, 2.0, -v75
	v_fma_f16 v84, v84, 2.0, -v85
	v_sub_f16_e32 v76, v62, v76
	v_sub_f16_e32 v90, v93, v90
	v_lshrrev_b32_e32 v138, 16, v56
	v_sub_f16_e32 v74, v59, v74
	v_sub_f16_e32 v71, v97, v71
	v_lshrrev_b32_e32 v156, 16, v53
	v_sub_f16_e64 v154, v60, v237
	v_sub_f16_e32 v94, v101, v94
	v_lshrrev_b32_e32 v234, 16, v54
	v_sub_f16_e32 v72, v57, v72
	v_sub_f16_e64 v98, v132, v98
	v_fma_f16 v61, v61, 2.0, -v153
	v_fma_f16 v89, v89, 2.0, -v73
	v_sub_f16_e32 v102, v58, v102
	v_sub_f16_e64 v232, v136, v133
	v_sub_f16_e64 v133, v152, v130
	v_fma_f16 v130, v51, 2.0, -v134
	v_pack_b32_f16 v51, v63, v80
	v_pack_b32_f16 v63, v66, v81
	v_fma_f16 v62, v62, 2.0, -v76
	v_fma_f16 v93, v93, 2.0, -v90
	v_sub_f16_e32 v69, v55, v69
	v_pack_b32_f16 v64, v64, v84
	v_pack_b32_f16 v66, v75, v85
	v_fma_f16 v59, v59, 2.0, -v74
	v_fma_f16 v97, v97, 2.0, -v71
	v_sub_f16_e32 v67, v56, v67
	v_sub_f16_e64 v68, v138, v68
	v_fma_f16 v60, v60, 2.0, -v154
	v_fma_f16 v101, v101, 2.0, -v94
	v_sub_f16_e64 v233, v53, v233
	v_sub_f16_e64 v135, v156, v135
	v_fma_f16 v57, v57, 2.0, -v72
	v_fma_f16 v157, v132, 2.0, -v98
	v_sub_f16_e32 v65, v54, v65
	v_sub_f16_e64 v137, v234, v137
	v_fma_f16 v58, v58, 2.0, -v102
	global_wb scope:SCOPE_SE
	s_barrier_signal -1
	s_barrier_wait -1
	global_inv scope:SCOPE_SE
	ds_store_2addr_b32 v149, v51, v63 offset1:2
	ds_store_2addr_b32 v150, v64, v66 offset1:2
	v_pack_b32_f16 v51, v61, v89
	v_pack_b32_f16 v61, v153, v73
	v_fma_f16 v55, v55, 2.0, -v69
	v_fma_f16 v136, v136, 2.0, -v232
	v_pack_b32_f16 v62, v62, v93
	v_pack_b32_f16 v63, v76, v90
	v_fma_f16 v56, v56, 2.0, -v67
	v_fma_f16 v138, v138, 2.0, -v68
	;; [unrolled: 4-line block ×4, first 2 shown]
	v_pack_b32_f16 v57, v57, v157
	v_pack_b32_f16 v71, v72, v98
	v_fma_f16 v132, v152, 2.0, -v133
	ds_store_2addr_b32 v144, v51, v61 offset1:2
	ds_store_2addr_b32 v145, v62, v63 offset1:2
	;; [unrolled: 1-line block ×5, first 2 shown]
	v_pack_b32_f16 v51, v58, v158
	v_pack_b32_f16 v57, v102, v70
	v_pack_b32_f16 v55, v55, v136
	v_pack_b32_f16 v58, v69, v232
	v_pack_b32_f16 v56, v56, v138
	v_pack_b32_f16 v59, v67, v68
	v_pack_b32_f16 v53, v53, v155
	v_pack_b32_f16 v60, v233, v135
	v_pack_b32_f16 v54, v54, v156
	v_pack_b32_f16 v61, v65, v137
	ds_store_2addr_b32 v139, v51, v57 offset1:2
	ds_store_2addr_b32 v140, v55, v58 offset1:2
	;; [unrolled: 1-line block ×5, first 2 shown]
	s_and_saveexec_b32 s1, vcc_lo
	s_cbranch_execz .LBB0_29
; %bb.28:
	v_and_or_b32 v51, 0x57c, v128, v129
	v_perm_b32 v53, v132, v130, 0x5040100
	v_perm_b32 v54, v133, v134, 0x5040100
	s_delay_alu instid0(VALU_DEP_3)
	v_lshlrev_b32_e32 v51, 2, v51
	ds_store_2addr_b32 v51, v53, v54 offset1:2
.LBB0_29:
	s_wait_alu 0xfffe
	s_or_b32 exec_lo, exec_lo, s1
	v_add_nc_u32_e32 v51, 0x800, v77
	v_add_nc_u32_e32 v53, 0xc00, v77
	v_add_nc_u32_e32 v54, 0x200, v77
	v_add_nc_u32_e32 v65, 0x1000, v77
	v_add_nc_u32_e32 v55, 0x400, v77
	v_add_nc_u32_e32 v66, 0x1200, v77
	global_wb scope:SCOPE_SE
	s_wait_dscnt 0x0
	s_barrier_signal -1
	s_barrier_wait -1
	global_inv scope:SCOPE_SE
	ds_load_2addr_b32 v[63:64], v77 offset1:56
	ds_load_2addr_b32 v[75:76], v51 offset0:188 offset1:244
	ds_load_2addr_b32 v[61:62], v77 offset0:112 offset1:168
	;; [unrolled: 1-line block ×11, first 2 shown]
	s_and_saveexec_b32 s1, vcc_lo
	s_cbranch_execz .LBB0_31
; %bb.30:
	ds_load_b32 v130, v77 offset:2688
	ds_load_b32 v134, v77 offset:5488
	s_wait_dscnt 0x1
	v_lshrrev_b32_e32 v132, 16, v130
	s_wait_dscnt 0x0
	v_lshrrev_b32_e32 v133, 16, v134
.LBB0_31:
	s_wait_alu 0xfffe
	s_or_b32 exec_lo, exec_lo, s1
	s_wait_dscnt 0xa
	v_lshrrev_b32_e32 v80, 16, v75
	v_lshrrev_b32_e32 v84, 16, v76
	s_wait_dscnt 0x8
	v_lshrrev_b32_e32 v89, 16, v73
	v_mul_f16_e64 v148, v175, v76
	v_lshrrev_b32_e32 v93, 16, v74
	v_mul_f16_e64 v144, v175, v80
	v_mul_f16_e64 v147, v175, v84
	s_wait_dscnt 0x6
	v_lshrrev_b32_e32 v97, 16, v71
	v_mul_f16_e64 v146, v175, v75
	v_lshrrev_b32_e32 v101, 16, v72
	v_fmac_f16_e64 v144, v151, v75
	v_mul_f16_e64 v75, v175, v89
	v_fmac_f16_e64 v147, v151, v76
	v_fma_f16 v76, v151, v84, -v148
	v_mul_f16_e64 v84, v175, v73
	s_wait_dscnt 0x4
	v_lshrrev_b32_e32 v129, 16, v69
	v_fma_f16 v80, v151, v80, -v146
	v_fmac_f16_e64 v75, v151, v73
	v_mul_f16_e64 v73, v175, v93
	v_mul_f16_e64 v146, v175, v74
	v_mul_f16_e64 v148, v175, v97
	v_fma_f16 v84, v151, v89, -v84
	v_mul_f16_e64 v89, v175, v71
	v_lshrrev_b32_e32 v136, 16, v70
	s_wait_dscnt 0x2
	v_lshrrev_b32_e32 v140, 16, v68
	v_fmac_f16_e64 v73, v151, v74
	v_fma_f16 v74, v151, v93, -v146
	v_fmac_f16_e64 v148, v151, v71
	v_mul_f16_e64 v71, v175, v101
	v_fma_f16 v89, v151, v97, -v89
	v_mul_f16_e64 v93, v175, v72
	v_mul_f16_e64 v97, v175, v129
	;; [unrolled: 1-line block ×3, first 2 shown]
	v_lshrrev_b32_e32 v138, 16, v67
	s_wait_dscnt 0x0
	v_lshrrev_b32_e32 v142, 16, v65
	v_fmac_f16_e64 v71, v151, v72
	v_mul_f16_e64 v72, v175, v136
	v_fma_f16 v93, v151, v101, -v93
	v_fmac_f16_e64 v97, v151, v69
	v_fma_f16 v69, v151, v129, -v146
	v_mul_f16_e64 v101, v175, v70
	v_mul_f16_e64 v146, v175, v140
	v_lshrrev_b32_e32 v145, 16, v66
	v_fmac_f16_e64 v72, v151, v70
	v_mul_f16_e64 v70, v175, v138
	v_mul_f16_e64 v129, v175, v67
	v_fma_f16 v101, v151, v136, -v101
	v_mul_f16_e64 v136, v175, v68
	v_fmac_f16_e64 v146, v151, v68
	v_mul_f16_e64 v68, v175, v142
	v_lshrrev_b32_e32 v51, 16, v63
	v_fmac_f16_e64 v70, v151, v67
	v_fma_f16 v67, v151, v138, -v129
	v_fma_f16 v129, v151, v140, -v136
	v_mul_f16_e64 v136, v175, v65
	v_mul_f16_e64 v138, v175, v145
	;; [unrolled: 1-line block ×3, first 2 shown]
	v_fmac_f16_e64 v68, v151, v65
	v_mul_f16_e64 v65, v175, v133
	v_lshrrev_b32_e32 v81, 16, v64
	v_lshrrev_b32_e32 v85, 16, v61
	v_fmac_f16_e64 v138, v151, v66
	v_fma_f16 v66, v151, v145, -v140
	v_mul_f16_e64 v140, v175, v134
	v_fmac_f16_e64 v65, v151, v134
	v_sub_f16_e64 v134, v63, v144
	v_sub_f16_e32 v80, v51, v80
	v_lshrrev_b32_e32 v90, 16, v62
	v_fma_f16 v136, v151, v142, -v136
	v_sub_f16_e64 v142, v64, v147
	v_sub_f16_e32 v76, v81, v76
	v_lshrrev_b32_e32 v94, 16, v59
	v_lshrrev_b32_e32 v98, 16, v60
	;; [unrolled: 1-line block ×4, first 2 shown]
	v_fma_f16 v133, v151, v133, -v140
	v_fma_f16 v63, v63, 2.0, -v134
	v_fma_f16 v140, v51, 2.0, -v80
	v_sub_f16_e32 v75, v61, v75
	v_sub_f16_e32 v84, v85, v84
	v_lshrrev_b32_e32 v137, 16, v55
	v_fma_f16 v64, v64, 2.0, -v142
	v_fma_f16 v81, v81, 2.0, -v76
	v_sub_f16_e64 v144, v62, v73
	v_sub_f16_e32 v74, v90, v74
	v_lshrrev_b32_e32 v139, 16, v56
	v_sub_f16_e64 v145, v59, v148
	v_sub_f16_e32 v89, v94, v89
	v_lshrrev_b32_e32 v141, 16, v53
	v_sub_f16_e32 v71, v60, v71
	v_sub_f16_e32 v93, v98, v93
	v_lshrrev_b32_e32 v143, 16, v54
	v_sub_f16_e32 v97, v57, v97
	v_sub_f16_e32 v69, v102, v69
	v_fma_f16 v61, v61, 2.0, -v75
	v_fma_f16 v85, v85, 2.0, -v84
	v_sub_f16_e32 v72, v58, v72
	v_sub_f16_e64 v101, v135, v101
	v_sub_f16_e64 v51, v130, v65
	v_pack_b32_f16 v63, v63, v140
	v_pack_b32_f16 v65, v134, v80
	v_fma_f16 v62, v62, 2.0, -v144
	v_fma_f16 v90, v90, 2.0, -v74
	v_sub_f16_e32 v70, v55, v70
	v_sub_f16_e64 v67, v137, v67
	v_pack_b32_f16 v64, v64, v81
	v_pack_b32_f16 v76, v142, v76
	v_fma_f16 v59, v59, 2.0, -v145
	v_fma_f16 v94, v94, 2.0, -v89
	v_sub_f16_e64 v146, v56, v146
	v_sub_f16_e64 v129, v139, v129
	v_fma_f16 v60, v60, 2.0, -v71
	v_fma_f16 v98, v98, 2.0, -v93
	v_sub_f16_e32 v68, v53, v68
	v_sub_f16_e64 v136, v141, v136
	v_fma_f16 v57, v57, 2.0, -v97
	v_fma_f16 v102, v102, 2.0, -v69
	v_sub_f16_e64 v138, v54, v138
	v_sub_f16_e64 v66, v143, v66
	v_fma_f16 v58, v58, 2.0, -v72
	v_fma_f16 v135, v135, 2.0, -v101
	global_wb scope:SCOPE_SE
	s_barrier_signal -1
	s_barrier_wait -1
	global_inv scope:SCOPE_SE
	ds_store_2addr_b32 v171, v63, v65 offset1:4
	ds_store_2addr_b32 v172, v64, v76 offset1:4
	v_pack_b32_f16 v61, v61, v85
	v_pack_b32_f16 v63, v75, v84
	v_fma_f16 v55, v55, 2.0, -v70
	v_fma_f16 v137, v137, 2.0, -v67
	v_pack_b32_f16 v62, v62, v90
	v_pack_b32_f16 v64, v144, v74
	v_fma_f16 v56, v56, 2.0, -v146
	v_fma_f16 v139, v139, 2.0, -v129
	;; [unrolled: 4-line block ×4, first 2 shown]
	v_pack_b32_f16 v57, v57, v102
	v_pack_b32_f16 v69, v97, v69
	v_sub_f16_e64 v73, v132, v133
	ds_store_2addr_b32 v165, v61, v63 offset1:4
	ds_store_2addr_b32 v166, v62, v64 offset1:4
	;; [unrolled: 1-line block ×5, first 2 shown]
	v_pack_b32_f16 v57, v58, v135
	v_pack_b32_f16 v58, v72, v101
	;; [unrolled: 1-line block ×10, first 2 shown]
	ds_store_2addr_b32 v159, v57, v58 offset1:4
	ds_store_2addr_b32 v160, v55, v59 offset1:4
	;; [unrolled: 1-line block ×5, first 2 shown]
	s_and_saveexec_b32 s1, vcc_lo
	s_cbranch_execz .LBB0_33
; %bb.32:
	v_fma_f16 v53, v130, 2.0, -v51
	v_and_or_b32 v54, 0x578, v128, v131
	v_fma_f16 v55, v132, 2.0, -v73
	s_delay_alu instid0(VALU_DEP_2) | instskip(NEXT) | instid1(VALU_DEP_2)
	v_lshlrev_b32_e32 v54, 2, v54
	v_pack_b32_f16 v53, v53, v55
	v_perm_b32 v55, v73, v51, 0x5040100
	ds_store_2addr_b32 v54, v53, v55 offset1:4
.LBB0_33:
	s_wait_alu 0xfffe
	s_or_b32 exec_lo, exec_lo, s1
	v_add_nc_u32_e32 v75, 0x200, v77
	v_add_nc_u32_e32 v63, 0x800, v77
	global_wb scope:SCOPE_SE
	s_wait_dscnt 0x0
	s_barrier_signal -1
	s_barrier_wait -1
	global_inv scope:SCOPE_SE
	ds_load_2addr_b32 v[55:56], v77 offset1:56
	ds_load_2addr_b32 v[53:54], v75 offset0:96 offset1:152
	ds_load_2addr_b32 v[66:67], v63 offset0:48 offset1:104
	v_add_nc_u32_e32 v59, 0xc00, v77
	v_add_nc_u32_e32 v76, 0x1000, v77
	;; [unrolled: 1-line block ×3, first 2 shown]
	ds_load_2addr_b32 v[68:69], v59 offset0:16 offset1:72
	ds_load_2addr_b32 v[70:71], v76 offset0:96 offset1:152
	;; [unrolled: 1-line block ×6, first 2 shown]
	v_add_nc_u32_e32 v60, 0x1200, v77
	v_add_nc_u32_e32 v61, 0xe00, v77
	ds_load_2addr_b32 v[134:135], v60 offset0:80 offset1:136
	ds_load_2addr_b32 v[136:137], v64 offset0:192 offset1:248
	;; [unrolled: 1-line block ×3, first 2 shown]
	ds_load_b32 v85, v77 offset:5376
	global_wb scope:SCOPE_SE
	s_wait_dscnt 0x0
	s_barrier_signal -1
	s_barrier_wait -1
	global_inv scope:SCOPE_SE
	v_lshrrev_b32_e32 v72, 16, v54
	v_lshrrev_b32_e32 v80, 16, v66
	;; [unrolled: 1-line block ×3, first 2 shown]
	v_mul_f16_e64 v150, v173, v66
	v_lshrrev_b32_e32 v81, 16, v69
	v_lshrrev_b32_e32 v84, 16, v70
	v_mul_f16_e64 v149, v173, v80
	v_lshrrev_b32_e32 v89, 16, v128
	v_mul_f16_e64 v152, v170, v69
	v_mul_f16_e64 v151, v170, v81
	;; [unrolled: 1-line block ×3, first 2 shown]
	v_fmac_f16_e64 v149, v1, v66
	v_mul_f16_e64 v66, v164, v70
	v_lshrrev_b32_e32 v93, 16, v130
	v_lshrrev_b32_e32 v97, 16, v129
	;; [unrolled: 1-line block ×3, first 2 shown]
	v_fma_f16 v80, v1, v80, -v150
	v_fmac_f16_e64 v151, v2, v69
	v_fma_f16 v81, v2, v81, -v152
	v_mul_f16_e64 v150, v164, v84
	v_mul_f16_e64 v152, v174, v89
	;; [unrolled: 1-line block ×3, first 2 shown]
	v_fma_f16 v84, v3, v84, -v66
	v_fmac_f16_e64 v153, v1, v67
	v_mul_f16_e64 v66, v173, v67
	v_mul_f16_e64 v67, v170, v130
	v_lshrrev_b32_e32 v94, 16, v71
	v_lshrrev_b32_e32 v102, 16, v134
	;; [unrolled: 1-line block ×3, first 2 shown]
	v_fmac_f16_e64 v152, v0, v128
	v_fma_f16 v89, v0, v89, -v69
	v_mul_f16_e64 v128, v170, v93
	v_mul_f16_e64 v69, v164, v71
	v_fma_f16 v90, v1, v90, -v66
	v_fma_f16 v93, v2, v93, -v67
	v_mul_f16_e64 v155, v174, v97
	v_mul_f16_e64 v66, v174, v129
	;; [unrolled: 1-line block ×4, first 2 shown]
	v_lshrrev_b32_e32 v101, 16, v131
	v_lshrrev_b32_e32 v141, 16, v133
	;; [unrolled: 1-line block ×3, first 2 shown]
	v_mul_f16_e64 v144, v174, v72
	v_lshrrev_b32_e32 v146, 16, v68
	v_mul_f16_e64 v154, v164, v94
	v_fma_f16 v94, v3, v94, -v69
	v_fmac_f16_e64 v155, v0, v129
	v_fma_f16 v97, v0, v97, -v66
	v_fmac_f16_e64 v156, v1, v132
	v_fma_f16 v98, v1, v98, -v67
	v_mul_f16_e64 v66, v170, v131
	v_mul_f16_e64 v129, v164, v102
	;; [unrolled: 1-line block ×5, first 2 shown]
	v_lshrrev_b32_e32 v145, 16, v137
	v_fmac_f16_e64 v144, v0, v54
	v_mul_f16_e64 v54, v174, v54
	v_fmac_f16_e64 v154, v3, v71
	v_mul_f16_e64 v157, v170, v101
	v_fma_f16 v101, v2, v101, -v66
	v_fmac_f16_e64 v129, v3, v134
	v_fma_f16 v102, v3, v102, -v67
	v_fmac_f16_e64 v132, v0, v136
	v_fma_f16 v134, v0, v140, -v69
	v_mul_f16_e64 v136, v173, v141
	v_mul_f16_e64 v66, v173, v133
	;; [unrolled: 1-line block ×6, first 2 shown]
	v_lshrrev_b32_e32 v143, 16, v135
	v_lshrrev_b32_e32 v147, 16, v139
	;; [unrolled: 1-line block ×3, first 2 shown]
	v_fma_f16 v54, v0, v72, -v54
	v_fmac_f16_e64 v150, v3, v70
	v_fmac_f16_e64 v136, v1, v133
	v_fma_f16 v133, v1, v141, -v66
	v_fmac_f16_e64 v140, v2, v138
	v_fma_f16 v138, v2, v142, -v67
	v_mul_f16_e64 v70, v174, v145
	v_mul_f16_e64 v67, v174, v137
	v_fmac_f16_e32 v69, v1, v68
	v_fma_f16 v68, v1, v146, -v71
	v_mul_f16_e64 v1, v170, v139
	v_add_f16_e64 v72, v55, v144
	v_fmac_f16_e64 v128, v2, v130
	v_mul_f16_e64 v158, v164, v143
	v_mul_f16_e64 v66, v164, v135
	v_fmac_f16_e64 v70, v0, v137
	v_fma_f16 v67, v0, v145, -v67
	v_add_f16_e64 v0, v149, v151
	v_mul_f16_e64 v130, v170, v147
	v_mul_f16_e64 v137, v164, v148
	v_fma_f16 v71, v2, v147, -v1
	v_add_f16_e64 v1, v72, v149
	v_add_f16_e64 v141, v144, v150
	v_lshrrev_b32_e32 v65, 16, v55
	v_fmac_f16_e64 v157, v2, v131
	v_fmac_f16_e64 v158, v3, v135
	v_fma_f16 v135, v3, v143, -v66
	v_fma_f16 v66, -0.5, v0, v55
	v_sub_f16_e32 v0, v54, v84
	v_fmac_f16_e64 v130, v2, v139
	v_fmac_f16_e64 v137, v3, v85
	v_sub_f16_e64 v139, v80, v81
	v_sub_f16_e64 v72, v144, v149
	;; [unrolled: 1-line block ×3, first 2 shown]
	v_mul_f16_e64 v85, v164, v85
	v_add_f16_e64 v1, v1, v151
	v_fma_f16 v55, -0.5, v141, v55
	v_fmamk_f16 v2, v0, 0xbb9c, v66
	v_add_f16_e64 v142, v72, v131
	v_fma_f16 v131, v3, v148, -v85
	v_add_f16_e64 v3, v1, v150
	v_fmac_f16_e32 v66, 0x3b9c, v0
	v_fma_f16 v72, 0x3b9c, v139, v55
	v_sub_f16_e64 v1, v149, v144
	v_sub_f16_e64 v85, v151, v150
	v_add_f16_e64 v141, v65, v54
	v_add_f16_e64 v143, v80, v81
	v_fmac_f16_e64 v55, 0xbb9c, v139
	v_fmac_f16_e64 v2, 0xb8b4, v139
	;; [unrolled: 1-line block ×3, first 2 shown]
	v_fmac_f16_e32 v72, 0xb8b4, v0
	v_add_f16_e32 v1, v1, v85
	v_add_f16_e64 v85, v141, v80
	v_fma_f16 v139, -0.5, v143, v65
	v_sub_f16_e64 v141, v144, v150
	v_fmac_f16_e32 v55, 0x38b4, v0
	v_fmac_f16_e64 v2, 0x34f2, v142
	v_fmac_f16_e64 v66, 0x34f2, v142
	v_fmac_f16_e32 v72, 0x34f2, v1
	v_add_f16_e32 v0, v85, v81
	v_fma_f16 v85, 0x3b9c, v141, v139
	v_add_f16_e64 v142, v54, v84
	v_sub_f16_e64 v143, v149, v151
	v_sub_f16_e64 v144, v54, v80
	;; [unrolled: 1-line block ×3, first 2 shown]
	v_fmac_f16_e32 v55, 0x34f2, v1
	v_fmac_f16_e64 v139, 0xbb9c, v141
	v_sub_f16_e32 v1, v80, v54
	v_sub_f16_e32 v54, v81, v84
	v_fmac_f16_e64 v65, -0.5, v142
	v_add_f16_e64 v142, v0, v84
	v_fmac_f16_e64 v85, 0x38b4, v143
	v_add_f16_e64 v0, v144, v145
	v_fmac_f16_e64 v139, 0xb8b4, v143
	v_add_f16_e32 v1, v1, v54
	v_add_f16_e64 v54, v56, v152
	v_fma_f16 v144, 0xbb9c, v143, v65
	v_fmac_f16_e32 v85, 0x34f2, v0
	v_add_f16_e64 v80, v153, v128
	v_fmac_f16_e64 v139, 0x34f2, v0
	v_fmac_f16_e64 v65, 0x3b9c, v143
	v_add_f16_e64 v0, v54, v153
	v_lshrrev_b32_e32 v61, 16, v56
	v_fmac_f16_e64 v144, 0x38b4, v141
	v_fma_f16 v80, -0.5, v80, v56
	v_sub_f16_e32 v81, v89, v94
	v_sub_f16_e64 v143, v152, v153
	v_sub_f16_e64 v145, v154, v128
	v_add_f16_e64 v146, v152, v154
	v_fmac_f16_e64 v65, 0xb8b4, v141
	v_add_f16_e64 v0, v0, v128
	v_fmac_f16_e64 v144, 0x34f2, v1
	v_fmamk_f16 v84, v81, 0xbb9c, v80
	v_sub_f16_e32 v54, v90, v93
	v_add_f16_e64 v141, v143, v145
	v_fmac_f16_e64 v56, -0.5, v146
	v_fmac_f16_e32 v65, 0x34f2, v1
	v_add_f16_e64 v143, v0, v154
	v_fmac_f16_e32 v80, 0x3b9c, v81
	v_sub_f16_e64 v0, v153, v152
	v_sub_f16_e64 v1, v128, v154
	v_add_f16_e64 v146, v61, v89
	v_fmac_f16_e32 v84, 0xb8b4, v54
	v_fmac_f16_e32 v80, 0x38b4, v54
	v_add_f16_e64 v147, v90, v93
	v_add_f16_e32 v0, v0, v1
	v_add_f16_e64 v1, v146, v90
	v_fmac_f16_e64 v84, 0x34f2, v141
	v_fma_f16 v145, 0x3b9c, v54, v56
	v_fmac_f16_e32 v56, 0xbb9c, v54
	v_fma_f16 v146, -0.5, v147, v61
	v_sub_f16_e64 v54, v152, v154
	v_fmac_f16_e64 v80, 0x34f2, v141
	v_add_f16_e32 v1, v1, v93
	v_add_f16_e64 v141, v89, v94
	v_fmac_f16_e64 v145, 0xb8b4, v81
	v_fmac_f16_e32 v56, 0x38b4, v81
	v_fma_f16 v81, 0x3b9c, v54, v146
	v_sub_f16_e64 v128, v153, v128
	v_sub_f16_e64 v147, v89, v90
	;; [unrolled: 1-line block ×3, first 2 shown]
	v_fmac_f16_e64 v61, -0.5, v141
	v_add_f16_e64 v141, v1, v94
	v_fmac_f16_e64 v146, 0xbb9c, v54
	v_sub_f16_e32 v1, v90, v89
	v_sub_f16_e32 v89, v93, v94
	v_fmac_f16_e64 v145, 0x34f2, v0
	v_fmac_f16_e32 v56, 0x34f2, v0
	v_fmac_f16_e64 v81, 0x38b4, v128
	v_add_f16_e64 v0, v147, v148
	v_fmac_f16_e64 v146, 0xb8b4, v128
	v_add_f16_e32 v1, v1, v89
	v_add_f16_e64 v89, v57, v155
	v_fma_f16 v147, 0xbb9c, v128, v61
	v_fmac_f16_e32 v81, 0x34f2, v0
	v_add_f16_e64 v90, v156, v157
	v_fmac_f16_e64 v146, 0x34f2, v0
	v_fmac_f16_e64 v61, 0x3b9c, v128
	v_add_f16_e64 v0, v89, v156
	v_lshrrev_b32_e32 v62, 16, v57
	v_fmac_f16_e64 v147, 0x38b4, v54
	v_fma_f16 v90, -0.5, v90, v57
	v_sub_f16_e32 v93, v97, v102
	v_sub_f16_e64 v128, v155, v156
	v_sub_f16_e64 v148, v129, v157
	v_fmac_f16_e32 v61, 0xb8b4, v54
	v_add_f16_e64 v0, v0, v157
	v_fmac_f16_e64 v147, 0x34f2, v1
	v_fmamk_f16 v89, v93, 0xbb9c, v90
	v_sub_f16_e32 v94, v98, v101
	v_add_f16_e64 v149, v155, v129
	v_add_f16_e64 v54, v128, v148
	v_fmac_f16_e32 v61, 0x34f2, v1
	v_add_f16_e64 v148, v0, v129
	v_fmac_f16_e32 v90, 0x3b9c, v93
	v_sub_f16_e64 v0, v156, v155
	v_sub_f16_e64 v1, v157, v129
	v_add_f16_e64 v128, v62, v97
	v_fmac_f16_e32 v89, 0xb8b4, v94
	v_fma_f16 v57, -0.5, v149, v57
	v_fmac_f16_e32 v90, 0x38b4, v94
	v_add_f16_e64 v150, v98, v101
	v_add_f16_e32 v0, v0, v1
	v_add_f16_e64 v1, v128, v98
	v_fmac_f16_e32 v89, 0x34f2, v54
	v_fma_f16 v149, 0x3b9c, v94, v57
	v_fmac_f16_e32 v57, 0xbb9c, v94
	v_fma_f16 v94, -0.5, v150, v62
	v_sub_f16_e64 v128, v155, v129
	v_fmac_f16_e32 v90, 0x34f2, v54
	v_add_f16_e32 v1, v1, v101
	v_add_f16_e32 v54, v97, v102
	v_fmac_f16_e64 v149, 0xb8b4, v93
	v_fmac_f16_e32 v57, 0x38b4, v93
	v_fma_f16 v93, 0x3b9c, v128, v94
	v_sub_f16_e64 v129, v156, v157
	v_sub_f16_e64 v150, v97, v98
	;; [unrolled: 1-line block ×3, first 2 shown]
	v_fmac_f16_e32 v62, -0.5, v54
	v_add_f16_e64 v152, v1, v102
	v_fmac_f16_e64 v94, 0xbb9c, v128
	v_sub_f16_e32 v1, v98, v97
	v_sub_f16_e32 v54, v101, v102
	v_fmac_f16_e64 v149, 0x34f2, v0
	v_fmac_f16_e32 v57, 0x34f2, v0
	v_fmac_f16_e64 v93, 0x38b4, v129
	v_add_f16_e64 v0, v150, v151
	v_fmac_f16_e64 v94, 0xb8b4, v129
	v_add_f16_e32 v1, v1, v54
	v_add_f16_e64 v54, v58, v132
	v_fma_f16 v150, 0xbb9c, v129, v62
	v_fmac_f16_e32 v93, 0x34f2, v0
	v_fmac_f16_e32 v94, 0x34f2, v0
	v_fmac_f16_e64 v62, 0x3b9c, v129
	v_add_f16_e64 v0, v54, v136
	v_lshrrev_b32_e32 v60, 16, v58
	v_add_f16_e64 v97, v136, v140
	v_fmac_f16_e64 v150, 0x38b4, v128
	v_add_f16_e64 v151, v132, v158
	v_fmac_f16_e64 v62, 0xb8b4, v128
	v_add_f16_e64 v0, v0, v140
	v_fma_f16 v97, -0.5, v97, v58
	v_sub_f16_e64 v98, v134, v135
	v_fmac_f16_e64 v150, 0x34f2, v1
	v_sub_f16_e64 v54, v133, v138
	v_sub_f16_e64 v102, v132, v136
	;; [unrolled: 1-line block ×3, first 2 shown]
	v_fmac_f16_e64 v58, -0.5, v151
	v_fmac_f16_e32 v62, 0x34f2, v1
	v_add_f16_e64 v151, v0, v158
	v_sub_f16_e64 v0, v136, v132
	v_sub_f16_e64 v1, v140, v158
	v_add_f16_e64 v128, v60, v134
	v_fmamk_f16 v101, v98, 0xbb9c, v97
	v_add_f16_e64 v102, v102, v129
	v_fmac_f16_e32 v97, 0x3b9c, v98
	v_fma_f16 v153, 0x3b9c, v54, v58
	v_add_f16_e64 v129, v133, v138
	v_add_f16_e32 v0, v0, v1
	v_fmac_f16_e32 v58, 0xbb9c, v54
	v_add_f16_e64 v1, v128, v133
	v_fmac_f16_e32 v101, 0xb8b4, v54
	v_fmac_f16_e32 v97, 0x38b4, v54
	v_fmac_f16_e64 v153, 0xb8b4, v98
	v_fma_f16 v154, -0.5, v129, v60
	v_sub_f16_e64 v128, v132, v158
	v_fmac_f16_e32 v58, 0x38b4, v98
	v_add_f16_e64 v1, v1, v138
	v_add_f16_e64 v54, v134, v135
	v_sub_f16_e64 v129, v134, v133
	v_sub_f16_e64 v132, v135, v138
	v_fmac_f16_e32 v101, 0x34f2, v102
	v_fmac_f16_e32 v97, 0x34f2, v102
	v_fmac_f16_e64 v153, 0x34f2, v0
	v_fma_f16 v98, 0x3b9c, v128, v154
	v_sub_f16_e64 v102, v136, v140
	v_fmac_f16_e32 v58, 0x34f2, v0
	v_fmac_f16_e32 v60, -0.5, v54
	v_add_f16_e64 v136, v1, v135
	v_add_f16_e64 v0, v129, v132
	v_fmac_f16_e64 v154, 0xbb9c, v128
	v_sub_f16_e64 v1, v133, v134
	v_sub_f16_e64 v54, v138, v135
	v_add_f16_e64 v129, v69, v130
	v_fmac_f16_e32 v98, 0x38b4, v102
	v_fma_f16 v132, 0xbb9c, v102, v60
	v_fmac_f16_e64 v154, 0xb8b4, v102
	v_add_f16_e32 v1, v1, v54
	v_fmac_f16_e32 v60, 0x3b9c, v102
	v_fma_f16 v54, -0.5, v129, v53
	v_sub_f16_e64 v133, v67, v131
	v_fmac_f16_e32 v98, 0x34f2, v0
	v_fmac_f16_e64 v132, 0x38b4, v128
	v_fmac_f16_e64 v154, 0x34f2, v0
	;; [unrolled: 1-line block ×3, first 2 shown]
	v_fma_f16 v0, 0xbb9c, v133, v54
	v_sub_f16_e64 v128, v68, v71
	v_sub_f16_e64 v129, v70, v69
	;; [unrolled: 1-line block ×3, first 2 shown]
	v_fmac_f16_e64 v54, 0x3b9c, v133
	v_add_f16_e64 v135, v70, v137
	v_lshrrev_b32_e32 v74, 16, v53
	v_add_f16_e32 v102, v53, v70
	v_fmac_f16_e64 v0, 0xb8b4, v128
	v_add_f16_e64 v129, v129, v134
	v_fmac_f16_e64 v54, 0x38b4, v128
	v_fmac_f16_e64 v53, -0.5, v135
	v_sub_f16_e64 v134, v69, v70
	v_sub_f16_e64 v135, v130, v137
	v_fmac_f16_e64 v132, 0x34f2, v1
	v_fmac_f16_e32 v60, 0x34f2, v1
	v_fmac_f16_e64 v0, 0x34f2, v129
	v_fmac_f16_e64 v54, 0x34f2, v129
	v_fma_f16 v1, 0x3b9c, v128, v53
	v_add_f16_e64 v129, v68, v71
	v_fmac_f16_e64 v53, 0xbb9c, v128
	v_add_f16_e64 v134, v134, v135
	v_add_f16_e64 v135, v67, v131
	v_add_f16_e32 v102, v102, v69
	v_add_f16_e64 v128, v74, v67
	v_fma_f16 v129, -0.5, v129, v74
	v_fmac_f16_e64 v1, 0xb8b4, v133
	v_fmac_f16_e64 v53, 0x38b4, v133
	v_sub_f16_e64 v69, v69, v130
	v_fmac_f16_e64 v74, -0.5, v135
	v_add_f16_e64 v102, v102, v130
	v_sub_f16_e64 v70, v70, v137
	v_add_f16_e64 v133, v128, v68
	v_fmac_f16_e64 v1, 0x34f2, v134
	v_fmac_f16_e64 v53, 0x34f2, v134
	v_sub_f16_e64 v134, v67, v68
	v_fma_f16 v130, 0xbb9c, v69, v74
	v_sub_f16_e32 v67, v68, v67
	v_sub_f16_e64 v68, v71, v131
	v_fmac_f16_e32 v74, 0x3b9c, v69
	v_fma_f16 v128, 0x3b9c, v70, v129
	v_fmac_f16_e64 v130, 0x38b4, v70
	v_sub_f16_e64 v135, v131, v71
	v_add_f16_e32 v67, v67, v68
	v_fmac_f16_e32 v74, 0xb8b4, v70
	v_fmac_f16_e64 v129, 0xbb9c, v70
	v_pack_b32_f16 v3, v3, v142
	v_pack_b32_f16 v2, v2, v85
	v_fmac_f16_e64 v130, 0x34f2, v67
	v_fmac_f16_e32 v74, 0x34f2, v67
	v_pack_b32_f16 v67, v72, v144
	v_pack_b32_f16 v55, v55, v65
	v_add_f16_e64 v133, v133, v71
	v_fmac_f16_e64 v128, 0x38b4, v69
	v_add_f16_e64 v71, v134, v135
	v_pack_b32_f16 v65, v66, v139
	v_fmac_f16_e64 v129, 0xb8b4, v69
	v_pack_b32_f16 v66, v143, v141
	v_pack_b32_f16 v69, v84, v81
	;; [unrolled: 1-line block ×4, first 2 shown]
	ds_store_2addr_b32 v176, v3, v2 offset1:8
	ds_store_2addr_b32 v176, v67, v55 offset0:16 offset1:24
	ds_store_b32 v176, v65 offset:128
	ds_store_2addr_b32 v177, v66, v69 offset1:8
	ds_store_2addr_b32 v177, v70, v56 offset0:16 offset1:24
	v_pack_b32_f16 v2, v80, v146
	v_pack_b32_f16 v3, v148, v152
	;; [unrolled: 1-line block ×3, first 2 shown]
	v_add_f16_e64 v102, v102, v137
	v_add_f16_e64 v68, v133, v131
	v_fmac_f16_e64 v128, 0x34f2, v71
	v_pack_b32_f16 v56, v149, v150
	v_pack_b32_f16 v57, v57, v62
	;; [unrolled: 1-line block ×3, first 2 shown]
	v_fmac_f16_e64 v129, 0x34f2, v71
	v_pack_b32_f16 v62, v151, v136
	v_pack_b32_f16 v65, v101, v98
	ds_store_b32 v177, v2 offset:128
	ds_store_2addr_b32 v178, v3, v55 offset1:8
	ds_store_2addr_b32 v178, v56, v57 offset0:16 offset1:24
	ds_store_b32 v178, v61 offset:128
	ds_store_2addr_b32 v179, v62, v65 offset1:8
	v_pack_b32_f16 v2, v153, v132
	v_pack_b32_f16 v3, v58, v60
	;; [unrolled: 1-line block ×8, first 2 shown]
	ds_store_2addr_b32 v179, v2, v3 offset0:16 offset1:24
	ds_store_b32 v179, v55 offset:128
	ds_store_2addr_b32 v180, v56, v57 offset1:8
	ds_store_2addr_b32 v180, v58, v60 offset0:16 offset1:24
	ds_store_b32 v180, v61 offset:128
	global_wb scope:SCOPE_SE
	s_wait_dscnt 0x0
	s_barrier_signal -1
	s_barrier_wait -1
	global_inv scope:SCOPE_SE
	ds_load_2addr_b32 v[55:56], v77 offset1:56
	ds_load_2addr_b32 v[2:3], v77 offset0:112 offset1:200
	ds_load_2addr_b32 v[71:72], v64 offset0:144 offset1:200
	ds_load_2addr_b32 v[61:62], v63 offset1:88
	ds_load_2addr_b32 v[69:70], v59 offset0:32 offset1:88
	ds_load_2addr_b32 v[59:60], v59 offset0:144 offset1:232
	;; [unrolled: 1-line block ×3, first 2 shown]
	ds_load_2addr_b32 v[65:66], v64 offset1:56
	ds_load_2addr_b32 v[63:64], v63 offset0:144 offset1:200
	ds_load_2addr_b32 v[57:58], v76 offset0:32 offset1:88
	ds_load_b32 v76, v77 offset:5248
	s_and_saveexec_b32 s1, s0
	s_cbranch_execz .LBB0_35
; %bb.34:
	v_add_nc_u32_e32 v51, 0x880, v77
	v_add_nc_u32_e32 v52, 0xf00, v77
	ds_load_2addr_b32 v[0:1], v75 offset0:40 offset1:240
	ds_load_2addr_b32 v[53:54], v51 offset0:24 offset1:224
	;; [unrolled: 1-line block ×3, first 2 shown]
	ds_load_b32 v199, v77 offset:5472
	s_wait_dscnt 0x3
	v_lshrrev_b32_e32 v128, 16, v0
	v_lshrrev_b32_e32 v130, 16, v1
	s_wait_dscnt 0x2
	v_lshrrev_b32_e32 v74, 16, v53
	v_lshrrev_b32_e32 v129, 16, v54
	s_wait_dscnt 0x1
	v_lshrrev_b32_e32 v73, 16, v51
	v_lshrrev_b32_e32 v197, 16, v52
	s_wait_dscnt 0x0
	v_lshrrev_b32_e32 v200, 16, v199
.LBB0_35:
	s_wait_alu 0xfffe
	s_or_b32 exec_lo, exec_lo, s1
	s_wait_dscnt 0x9
	v_lshrrev_b32_e32 v80, 16, v3
	s_wait_dscnt 0x8
	v_lshrrev_b32_e32 v81, 16, v71
	;; [unrolled: 2-line block ×5, first 2 shown]
	v_mul_f16_e64 v135, v191, v80
	s_wait_dscnt 0x4
	v_lshrrev_b32_e32 v90, 16, v67
	v_mul_f16_e64 v140, v194, v81
	v_mul_f16_e64 v141, v194, v71
	;; [unrolled: 1-line block ×3, first 2 shown]
	v_fmac_f16_e64 v135, v16, v3
	v_mul_f16_e64 v3, v191, v3
	v_mul_f16_e64 v143, v196, v62
	s_wait_dscnt 0x3
	v_lshrrev_b32_e32 v94, 16, v65
	v_lshrrev_b32_e32 v97, 16, v72
	v_fmac_f16_e64 v140, v17, v71
	v_fma_f16 v3, v16, v80, -v3
	v_fma_f16 v16, v17, v81, -v141
	v_fmac_f16_e64 v142, v18, v62
	v_fma_f16 v17, v18, v84, -v143
	v_mul_f16_e64 v18, v195, v85
	v_mul_f16_e64 v62, v195, v69
	;; [unrolled: 1-line block ×5, first 2 shown]
	s_wait_dscnt 0x2
	v_lshrrev_b32_e32 v98, 16, v63
	v_lshrrev_b32_e32 v101, 16, v70
	s_wait_dscnt 0x1
	v_lshrrev_b32_e32 v102, 16, v57
	v_fmac_f16_e32 v18, v19, v69
	v_fma_f16 v19, v19, v85, -v62
	v_fmac_f16_e32 v71, v45, v60
	v_fma_f16 v45, v45, v89, -v80
	v_fmac_f16_e32 v81, v46, v67
	v_mul_f16_e64 v60, v188, v67
	v_mul_f16_e64 v62, v204, v94
	;; [unrolled: 1-line block ×5, first 2 shown]
	v_lshrrev_b32_e32 v131, 16, v68
	v_lshrrev_b32_e32 v133, 16, v66
	v_fma_f16 v46, v46, v90, -v60
	v_fmac_f16_e32 v62, v24, v65
	v_fma_f16 v24, v24, v94, -v67
	v_fmac_f16_e32 v69, v25, v72
	v_fma_f16 v25, v25, v97, -v80
	v_mul_f16_e64 v60, v205, v98
	v_mul_f16_e64 v65, v205, v63
	;; [unrolled: 1-line block ×5, first 2 shown]
	v_lshrrev_b32_e32 v134, 16, v61
	v_lshrrev_b32_e32 v136, 16, v64
	;; [unrolled: 1-line block ×3, first 2 shown]
	v_fmac_f16_e32 v60, v26, v63
	v_fma_f16 v26, v26, v98, -v65
	v_fmac_f16_e32 v67, v27, v70
	v_fma_f16 v27, v27, v101, -v72
	v_fmac_f16_e32 v80, v49, v57
	v_mul_f16_e64 v57, v203, v57
	v_mul_f16_e64 v63, v198, v131
	;; [unrolled: 1-line block ×5, first 2 shown]
	v_lshrrev_b32_e32 v138, 16, v58
	s_wait_dscnt 0x0
	v_lshrrev_b32_e32 v139, 16, v76
	v_fma_f16 v49, v49, v102, -v57
	v_fmac_f16_e32 v63, v50, v68
	v_fma_f16 v50, v50, v131, -v65
	v_fmac_f16_e32 v70, v20, v66
	v_fma_f16 v20, v20, v133, -v72
	v_mul_f16_e64 v57, v209, v134
	v_mul_f16_e64 v65, v209, v61
	;; [unrolled: 1-line block ×5, first 2 shown]
	v_fmac_f16_e32 v57, v21, v61
	v_fma_f16 v21, v21, v134, -v65
	v_fmac_f16_e32 v66, v22, v64
	v_fma_f16 v22, v22, v136, -v68
	v_fmac_f16_e32 v72, v23, v59
	v_mul_f16_e64 v59, v206, v59
	v_mul_f16_e64 v61, v207, v138
	;; [unrolled: 1-line block ×5, first 2 shown]
	v_fma_f16 v23, v23, v137, -v59
	v_fmac_f16_e32 v61, v47, v58
	v_fmac_f16_e32 v65, v48, v76
	v_fma_f16 v48, v48, v139, -v68
	v_add_f16_e64 v58, v135, v81
	v_add_f16_e32 v59, v3, v46
	v_sub_f16_e32 v3, v3, v46
	v_add_f16_e64 v46, v140, v71
	v_add_f16_e32 v68, v16, v45
	v_fma_f16 v47, v47, v138, -v64
	v_sub_f16_e64 v64, v135, v81
	v_sub_f16_e64 v71, v140, v71
	v_sub_f16_e32 v16, v16, v45
	v_add_f16_e64 v45, v142, v18
	v_add_f16_e32 v76, v17, v19
	v_sub_f16_e64 v18, v18, v142
	v_sub_f16_e32 v17, v19, v17
	v_add_f16_e32 v19, v46, v58
	v_add_f16_e32 v81, v68, v59
	v_lshrrev_b32_e32 v75, 16, v55
	v_sub_f16_e32 v84, v46, v58
	v_sub_f16_e32 v85, v68, v59
	;; [unrolled: 1-line block ×6, first 2 shown]
	v_add_f16_e32 v89, v18, v71
	v_add_f16_e32 v90, v17, v16
	v_sub_f16_e32 v94, v18, v71
	v_sub_f16_e32 v97, v17, v16
	;; [unrolled: 1-line block ×3, first 2 shown]
	v_add_f16_e32 v19, v45, v19
	v_add_f16_e32 v45, v76, v81
	v_sub_f16_e32 v16, v16, v3
	v_sub_f16_e32 v18, v64, v18
	;; [unrolled: 1-line block ×3, first 2 shown]
	v_add_f16_e32 v64, v89, v64
	v_add_f16_e32 v3, v90, v3
	;; [unrolled: 1-line block ×4, first 2 shown]
	v_mul_f16_e32 v58, 0x3a52, v58
	v_mul_f16_e32 v59, 0x3a52, v59
	;; [unrolled: 1-line block ×8, first 2 shown]
	v_fmamk_f16 v19, v19, 0xbcab, v55
	v_fmamk_f16 v45, v45, 0xbcab, v75
	;; [unrolled: 1-line block ×4, first 2 shown]
	v_fma_f16 v76, v84, 0x39e0, -v76
	v_fma_f16 v81, v85, 0x39e0, -v81
	;; [unrolled: 1-line block ×4, first 2 shown]
	v_fmamk_f16 v84, v18, 0xb574, v89
	v_fmamk_f16 v85, v17, 0xb574, v90
	v_fma_f16 v18, v18, 0x3574, -v94
	v_fma_f16 v17, v17, 0x3574, -v97
	;; [unrolled: 1-line block ×4, first 2 shown]
	v_add_f16_e32 v46, v46, v19
	v_add_f16_e32 v68, v68, v45
	;; [unrolled: 1-line block ×6, first 2 shown]
	v_fmac_f16_e32 v84, 0xb70e, v64
	v_fmac_f16_e32 v85, 0xb70e, v3
	;; [unrolled: 1-line block ×6, first 2 shown]
	v_add_f16_e32 v3, v85, v46
	v_sub_f16_e32 v58, v68, v84
	v_add_f16_e32 v59, v17, v19
	v_sub_f16_e32 v64, v45, v18
	v_sub_f16_e32 v17, v19, v17
	v_add_f16_e32 v18, v18, v45
	v_sub_f16_e32 v19, v46, v85
	v_add_f16_e32 v45, v84, v68
	v_add_f16_e32 v46, v62, v63
	v_add_f16_e32 v68, v24, v50
	v_sub_f16_e32 v62, v62, v63
	v_sub_f16_e32 v24, v24, v50
	v_add_f16_e32 v50, v69, v80
	v_add_f16_e32 v63, v25, v49
	v_sub_f16_e32 v89, v76, v16
	v_add_f16_e32 v16, v16, v76
	v_sub_f16_e32 v69, v69, v80
	v_sub_f16_e32 v25, v25, v49
	v_add_f16_e32 v49, v60, v67
	v_add_f16_e32 v76, v26, v27
	v_sub_f16_e32 v60, v67, v60
	v_sub_f16_e32 v26, v27, v26
	v_add_f16_e32 v27, v50, v46
	v_add_f16_e32 v67, v63, v68
	v_lshrrev_b32_e32 v93, 16, v56
	v_add_f16_e32 v90, v71, v81
	v_sub_f16_e32 v71, v81, v71
	v_sub_f16_e32 v80, v50, v46
	;; [unrolled: 1-line block ×7, first 2 shown]
	v_add_f16_e32 v84, v60, v69
	v_add_f16_e32 v85, v26, v25
	v_sub_f16_e32 v94, v60, v69
	v_sub_f16_e32 v97, v26, v25
	;; [unrolled: 1-line block ×3, first 2 shown]
	v_add_f16_e32 v27, v49, v27
	v_add_f16_e32 v49, v76, v67
	v_sub_f16_e32 v25, v25, v24
	v_sub_f16_e32 v60, v62, v60
	;; [unrolled: 1-line block ×3, first 2 shown]
	v_add_f16_e32 v62, v84, v62
	v_add_f16_e32 v24, v85, v24
	;; [unrolled: 1-line block ×4, first 2 shown]
	v_mul_f16_e32 v46, 0x3a52, v46
	v_mul_f16_e32 v68, 0x3a52, v68
	;; [unrolled: 1-line block ×8, first 2 shown]
	v_fmamk_f16 v27, v27, 0xbcab, v56
	v_fmamk_f16 v49, v49, 0xbcab, v67
	;; [unrolled: 1-line block ×4, first 2 shown]
	v_fma_f16 v76, v80, 0x39e0, -v76
	v_fma_f16 v84, v81, 0x39e0, -v84
	;; [unrolled: 1-line block ×4, first 2 shown]
	v_fmamk_f16 v80, v60, 0xb574, v85
	v_fmamk_f16 v81, v26, 0xb574, v93
	v_fma_f16 v60, v60, 0x3574, -v94
	v_fma_f16 v26, v26, 0x3574, -v97
	;; [unrolled: 1-line block ×4, first 2 shown]
	v_add_f16_e32 v50, v50, v27
	v_add_f16_e32 v63, v63, v49
	;; [unrolled: 1-line block ×5, first 2 shown]
	v_fmac_f16_e32 v80, 0xb70e, v62
	v_fmac_f16_e32 v81, 0xb70e, v24
	;; [unrolled: 1-line block ×4, first 2 shown]
	v_add_f16_e32 v84, v84, v49
	v_fmac_f16_e32 v69, 0xb70e, v62
	v_fmac_f16_e32 v25, 0xb70e, v24
	v_add_f16_e32 v24, v81, v50
	v_sub_f16_e32 v49, v63, v80
	v_add_f16_e32 v62, v26, v27
	v_sub_f16_e32 v68, v46, v60
	v_sub_f16_e32 v26, v27, v26
	v_add_f16_e32 v27, v60, v46
	v_sub_f16_e32 v46, v50, v81
	v_add_f16_e32 v50, v80, v63
	v_add_f16_e32 v60, v70, v65
	;; [unrolled: 1-line block ×3, first 2 shown]
	v_sub_f16_e32 v65, v70, v65
	v_sub_f16_e32 v20, v20, v48
	v_add_f16_e32 v48, v57, v61
	v_add_f16_e32 v70, v21, v47
	v_sub_f16_e32 v57, v57, v61
	v_sub_f16_e32 v21, v21, v47
	v_add_f16_e32 v47, v66, v72
	v_add_f16_e32 v61, v22, v23
	;; [unrolled: 4-line block ×3, first 2 shown]
	v_lshrrev_b32_e32 v132, 16, v2
	v_sub_f16_e32 v85, v76, v25
	v_add_f16_e32 v93, v69, v84
	v_add_f16_e32 v25, v25, v76
	v_sub_f16_e32 v69, v84, v69
	v_sub_f16_e32 v76, v48, v60
	;; [unrolled: 1-line block ×7, first 2 shown]
	v_add_f16_e32 v81, v66, v57
	v_add_f16_e32 v84, v22, v21
	v_sub_f16_e32 v94, v66, v57
	v_sub_f16_e32 v97, v22, v21
	v_add_f16_e32 v23, v47, v23
	v_add_f16_e32 v47, v61, v72
	v_sub_f16_e32 v57, v57, v65
	v_sub_f16_e32 v21, v21, v20
	;; [unrolled: 1-line block ×4, first 2 shown]
	v_add_f16_e32 v61, v81, v65
	v_add_f16_e32 v20, v84, v20
	;; [unrolled: 1-line block ×3, first 2 shown]
	v_add_f16_e64 v65, v132, v47
	v_mul_f16_e32 v60, 0x3a52, v60
	v_mul_f16_e32 v63, 0x3a52, v63
	;; [unrolled: 1-line block ×8, first 2 shown]
	v_fmamk_f16 v23, v23, 0xbcab, v2
	v_fmamk_f16 v47, v47, 0xbcab, v65
	;; [unrolled: 1-line block ×4, first 2 shown]
	v_fma_f16 v72, v76, 0x39e0, -v72
	v_fma_f16 v81, v80, 0x39e0, -v81
	v_fma_f16 v60, v76, 0xb9e0, -v60
	v_fma_f16 v63, v80, 0xb9e0, -v63
	v_fmamk_f16 v76, v66, 0xb574, v84
	v_fmamk_f16 v80, v22, 0xb574, v94
	v_fma_f16 v57, v57, 0xbb00, -v84
	v_fma_f16 v21, v21, 0xbb00, -v94
	;; [unrolled: 1-line block ×4, first 2 shown]
	v_pack_b32_f16 v55, v55, v75
	v_pack_b32_f16 v3, v3, v58
	v_add_f16_e32 v48, v48, v23
	v_add_f16_e32 v70, v70, v47
	v_fmac_f16_e32 v76, 0xb70e, v61
	v_fmac_f16_e32 v80, 0xb70e, v20
	v_pack_b32_f16 v58, v59, v64
	v_pack_b32_f16 v59, v89, v90
	v_add_f16_e32 v72, v72, v23
	v_add_f16_e32 v81, v81, v47
	;; [unrolled: 1-line block ×4, first 2 shown]
	v_fmac_f16_e32 v57, 0xb70e, v61
	v_fmac_f16_e32 v22, 0xb70e, v20
	;; [unrolled: 1-line block ×4, first 2 shown]
	global_wb scope:SCOPE_SE
	s_barrier_signal -1
	s_barrier_wait -1
	global_inv scope:SCOPE_SE
	ds_store_2addr_b32 v182, v55, v3 offset1:40
	ds_store_2addr_b32 v182, v58, v59 offset0:80 offset1:120
	v_pack_b32_f16 v3, v16, v71
	v_pack_b32_f16 v16, v17, v18
	v_add_f16_e32 v20, v80, v48
	v_sub_f16_e32 v60, v70, v76
	v_pack_b32_f16 v17, v19, v45
	v_add_f16_e32 v61, v22, v23
	v_sub_f16_e32 v63, v47, v66
	v_sub_f16_e32 v84, v72, v21
	v_add_f16_e32 v94, v57, v81
	v_pack_b32_f16 v18, v56, v67
	v_pack_b32_f16 v19, v24, v49
	v_add_f16_e32 v21, v21, v72
	v_sub_f16_e32 v57, v81, v57
	v_sub_f16_e32 v22, v23, v22
	v_add_f16_e32 v23, v66, v47
	v_pack_b32_f16 v24, v62, v68
	v_pack_b32_f16 v45, v85, v93
	v_sub_f16_e32 v47, v48, v80
	v_add_f16_e32 v48, v76, v70
	v_pack_b32_f16 v25, v25, v69
	v_pack_b32_f16 v26, v26, v27
	ds_store_2addr_b32 v182, v3, v16 offset0:160 offset1:200
	ds_store_b32 v182, v17 offset:960
	ds_store_2addr_b32 v183, v18, v19 offset1:40
	ds_store_2addr_b32 v183, v24, v45 offset0:80 offset1:120
	ds_store_2addr_b32 v183, v25, v26 offset0:160 offset1:200
	v_pack_b32_f16 v3, v46, v50
	v_pack_b32_f16 v2, v2, v65
	;; [unrolled: 1-line block ×8, first 2 shown]
	ds_store_b32 v183, v3 offset:960
	ds_store_2addr_b32 v184, v2, v16 offset1:40
	ds_store_2addr_b32 v184, v17, v18 offset0:80 offset1:120
	ds_store_2addr_b32 v184, v19, v20 offset0:160 offset1:200
	ds_store_b32 v184, v21 offset:960
	s_and_saveexec_b32 s1, s0
	s_cbranch_execz .LBB0_37
; %bb.36:
	v_mul_f16_e64 v2, v193, v130
	v_mul_f16_e64 v17, v185, v74
	v_mul_f16_e64 v19, v192, v200
	v_mul_f16_e64 v22, v192, v199
	v_mul_f16_e64 v26, v189, v52
	v_fmac_f16_e32 v2, v4, v1
	v_mul_f16_e64 v1, v193, v1
	v_mul_f16_e64 v27, v185, v53
	;; [unrolled: 1-line block ×5, first 2 shown]
	v_fmac_f16_e32 v17, v5, v53
	v_fmac_f16_e64 v19, v44, v199
	v_fma_f16 v22, v44, v200, -v22
	v_fma_f16 v1, v4, v130, -v1
	v_mul_f16_e64 v4, v186, v54
	v_mul_f16_e64 v44, v187, v51
	v_fma_f16 v26, v43, v197, -v26
	v_fma_f16 v5, v5, v74, -v27
	v_fmac_f16_e32 v3, v7, v51
	v_fmac_f16_e32 v16, v6, v54
	;; [unrolled: 1-line block ×3, first 2 shown]
	v_add_f16_e32 v27, v22, v1
	v_fma_f16 v4, v6, v129, -v4
	v_fma_f16 v6, v7, v73, -v44
	v_add_f16_e32 v7, v26, v5
	v_sub_f16_e32 v21, v17, v18
	v_sub_f16_e32 v23, v2, v19
	v_add_f16_e32 v2, v19, v2
	v_add_f16_e32 v44, v6, v4
	v_add_f16_e32 v45, v7, v27
	v_add_f16_e32 v17, v18, v17
	v_sub_f16_e32 v20, v3, v16
	v_add_f16_e32 v3, v3, v16
	v_sub_f16_e32 v46, v27, v44
	v_add_f16_e32 v45, v44, v45
	;; [unrolled: 2-line block ×3, first 2 shown]
	v_sub_f16_e32 v47, v2, v3
	v_sub_f16_e32 v4, v6, v4
	;; [unrolled: 1-line block ×4, first 2 shown]
	v_add_f16_e32 v44, v3, v44
	v_sub_f16_e32 v24, v20, v21
	v_sub_f16_e32 v25, v23, v20
	v_add_f16_e32 v20, v20, v21
	v_mul_f16_e32 v6, 0x3a52, v47
	v_sub_f16_e32 v3, v3, v17
	v_add_f16_e32 v0, v0, v44
	v_sub_f16_e32 v22, v4, v5
	v_sub_f16_e32 v21, v21, v23
	v_mul_f16_e32 v19, 0x3a52, v46
	v_sub_f16_e32 v47, v1, v4
	v_add_f16_e32 v4, v4, v5
	v_sub_f16_e32 v7, v7, v27
	v_sub_f16_e32 v5, v5, v1
	v_mul_f16_e32 v24, 0x3846, v24
	v_add_f16_e64 v16, v128, v45
	v_mul_f16_e32 v46, 0x2b26, v18
	v_fmamk_f16 v26, v3, 0x2b26, v6
	v_fmamk_f16 v44, v44, 0xbcab, v0
	v_mul_f16_e32 v22, 0x3846, v22
	v_mul_f16_e32 v49, 0xbb00, v21
	v_fmamk_f16 v18, v18, 0x2b26, v19
	v_mul_f16_e32 v3, 0x2b26, v3
	v_sub_f16_e32 v2, v17, v2
	v_fma_f16 v17, v7, 0xb9e0, -v19
	v_mul_f16_e32 v19, 0xbb00, v5
	v_fmamk_f16 v43, v25, 0xb574, v24
	v_add_f16_e32 v20, v20, v23
	v_fmamk_f16 v45, v45, 0xbcab, v16
	v_add_f16_e32 v23, v26, v44
	v_fmamk_f16 v26, v47, 0xb574, v22
	v_add_f16_e32 v1, v4, v1
	v_fma_f16 v4, v25, 0x3574, -v49
	v_fma_f16 v7, v7, 0x39e0, -v46
	;; [unrolled: 1-line block ×7, first 2 shown]
	v_fmac_f16_e32 v43, 0xb70e, v20
	v_add_f16_e32 v18, v18, v45
	v_fmac_f16_e32 v26, 0xb70e, v1
	v_fmac_f16_e32 v4, 0xb70e, v20
	v_add_f16_e32 v17, v17, v45
	v_add_f16_e32 v3, v7, v45
	v_fmac_f16_e32 v21, 0xb70e, v20
	v_add_f16_e32 v6, v6, v44
	v_fmac_f16_e32 v19, 0xb70e, v1
	v_fmac_f16_e32 v5, 0xb70e, v1
	v_add_f16_e32 v1, v2, v44
	v_add_f16_e32 v48, v43, v18
	;; [unrolled: 1-line block ×3, first 2 shown]
	v_sub_f16_e32 v22, v3, v21
	v_add_f16_e32 v3, v21, v3
	v_sub_f16_e32 v4, v17, v4
	v_sub_f16_e32 v17, v18, v43
	v_add_f16_e32 v18, v26, v23
	v_lshlrev_b32_e32 v21, 2, v181
	v_sub_f16_e32 v20, v6, v19
	v_add_f16_e32 v24, v5, v1
	v_add_f16_e32 v6, v19, v6
	v_sub_f16_e32 v1, v1, v5
	v_sub_f16_e32 v2, v23, v26
	v_pack_b32_f16 v0, v0, v16
	v_pack_b32_f16 v5, v18, v17
	v_add_nc_u32_e32 v16, 0x1000, v21
	v_pack_b32_f16 v4, v6, v4
	v_pack_b32_f16 v1, v1, v3
	;; [unrolled: 1-line block ×4, first 2 shown]
	v_add_nc_u32_e32 v7, 0x1400, v21
	v_pack_b32_f16 v2, v2, v48
	ds_store_2addr_b32 v16, v0, v5 offset0:96 offset1:136
	ds_store_2addr_b32 v16, v4, v1 offset0:176 offset1:216
	ds_store_2addr_b32 v7, v3, v6 offset1:40
	ds_store_b32 v21, v2 offset:5440
.LBB0_37:
	s_wait_alu 0xfffe
	s_or_b32 exec_lo, exec_lo, s1
	v_add_nc_u32_e32 v19, 0x200, v77
	v_add_nc_u32_e32 v7, 0x800, v77
	global_wb scope:SCOPE_SE
	s_wait_dscnt 0x0
	s_barrier_signal -1
	s_barrier_wait -1
	global_inv scope:SCOPE_SE
	ds_load_2addr_b32 v[2:3], v77 offset1:56
	ds_load_2addr_b32 v[0:1], v19 offset0:96 offset1:152
	ds_load_2addr_b32 v[25:26], v7 offset0:48 offset1:104
	v_add_nc_u32_e32 v18, 0xc00, v77
	v_add_nc_u32_e32 v16, 0x1000, v77
	;; [unrolled: 1-line block ×3, first 2 shown]
	ds_load_2addr_b32 v[43:44], v18 offset0:16 offset1:72
	ds_load_2addr_b32 v[45:46], v16 offset0:96 offset1:152
	;; [unrolled: 1-line block ×6, first 2 shown]
	v_add_nc_u32_e32 v6, 0x1200, v77
	v_add_nc_u32_e32 v20, 0xe00, v77
	ds_load_2addr_b32 v[53:54], v6 offset0:80 offset1:136
	ds_load_2addr_b32 v[55:56], v17 offset0:192 offset1:248
	;; [unrolled: 1-line block ×3, first 2 shown]
	ds_load_b32 v62, v77 offset:5376
	s_mov_b32 s10, 0xe434a9b1
	s_mov_b32 s11, 0x3f4767dc
	s_wait_dscnt 0xb
	v_lshrrev_b32_e32 v27, 16, v1
	s_wait_dscnt 0xa
	v_lshrrev_b32_e32 v59, 16, v25
	v_mul_f16_e64 v89, v217, v25
	v_lshrrev_b32_e32 v64, 16, v26
	s_wait_dscnt 0x9
	v_lshrrev_b32_e32 v60, 16, v44
	v_mul_f16_e64 v75, v219, v27
	s_wait_dscnt 0x8
	v_lshrrev_b32_e32 v61, 16, v45
	s_wait_dscnt 0x7
	v_lshrrev_b32_e32 v63, 16, v47
	v_mul_f16_e64 v93, v218, v44
	v_mul_f16_e64 v90, v218, v60
	v_fmac_f16_e32 v75, v8, v1
	v_mul_f16_e64 v1, v219, v1
	s_wait_dscnt 0x6
	v_lshrrev_b32_e32 v65, 16, v49
	v_mul_f16_e64 v85, v217, v59
	v_fma_f16 v59, v9, v59, -v89
	v_fmac_f16_e32 v90, v10, v44
	v_fma_f16 v27, v8, v27, -v1
	v_fma_f16 v44, v10, v60, -v93
	v_mul_f16_e64 v60, v215, v61
	v_mul_f16_e64 v1, v215, v45
	;; [unrolled: 1-line block ×4, first 2 shown]
	v_lshrrev_b32_e32 v66, 16, v46
	v_lshrrev_b32_e32 v67, 16, v48
	v_fmac_f16_e32 v60, v11, v45
	v_fma_f16 v45, v11, v61, -v1
	v_fmac_f16_e32 v89, v12, v47
	v_fma_f16 v47, v12, v63, -v8
	v_mul_f16_e64 v1, v214, v26
	v_mul_f16_e64 v61, v213, v65
	;; [unrolled: 1-line block ×3, first 2 shown]
	s_wait_dscnt 0x4
	v_lshrrev_b32_e32 v68, 16, v51
	v_lshrrev_b32_e32 v69, 16, v50
	v_fmac_f16_e32 v85, v9, v25
	v_mul_f16_e64 v93, v214, v64
	v_mul_f16_e64 v63, v212, v66
	;; [unrolled: 1-line block ×3, first 2 shown]
	v_fma_f16 v64, v13, v64, -v1
	v_fmac_f16_e32 v61, v14, v49
	v_fma_f16 v49, v14, v65, -v8
	v_mul_f16_e64 v65, v221, v67
	v_mul_f16_e64 v1, v221, v48
	s_wait_dscnt 0x3
	v_lshrrev_b32_e32 v70, 16, v53
	s_wait_dscnt 0x2
	v_lshrrev_b32_e32 v71, 16, v55
	v_lshrrev_b32_e32 v72, 16, v52
	v_fmac_f16_e32 v63, v15, v46
	v_fma_f16 v46, v15, v66, -v9
	v_mul_f16_e64 v66, v223, v68
	v_mul_f16_e64 v8, v223, v51
	;; [unrolled: 1-line block ×3, first 2 shown]
	v_fmac_f16_e32 v65, v32, v48
	v_fma_f16 v32, v32, v67, -v1
	v_mul_f16_e64 v1, v220, v50
	s_wait_dscnt 0x1
	v_lshrrev_b32_e32 v73, 16, v57
	v_lshrrev_b32_e32 v74, 16, v54
	v_fmac_f16_e32 v66, v33, v51
	v_fma_f16 v33, v33, v68, -v8
	v_fmac_f16_e32 v94, v34, v50
	v_mul_f16_e64 v48, v222, v70
	v_mul_f16_e64 v8, v222, v53
	;; [unrolled: 1-line block ×3, first 2 shown]
	v_fma_f16 v34, v34, v69, -v1
	v_mul_f16_e64 v51, v225, v72
	v_mul_f16_e64 v1, v225, v52
	v_lshrrev_b32_e32 v76, 16, v56
	v_lshrrev_b32_e32 v80, 16, v43
	v_mul_f16_e64 v9, v227, v55
	v_fmac_f16_e32 v48, v35, v53
	v_fma_f16 v35, v35, v70, -v8
	v_fmac_f16_e32 v50, v28, v55
	v_mul_f16_e64 v53, v226, v73
	v_mul_f16_e64 v8, v226, v57
	;; [unrolled: 1-line block ×3, first 2 shown]
	v_fmac_f16_e32 v51, v29, v52
	v_fma_f16 v29, v29, v72, -v1
	v_mul_f16_e64 v1, v224, v54
	v_lshrrev_b32_e32 v81, 16, v58
	s_wait_dscnt 0x0
	v_lshrrev_b32_e32 v84, 16, v62
	v_fma_f16 v28, v28, v71, -v9
	v_fmac_f16_e32 v53, v30, v57
	v_fma_f16 v30, v30, v73, -v8
	v_fmac_f16_e32 v55, v31, v54
	v_mul_f16_e64 v12, v230, v76
	v_mul_f16_e64 v8, v230, v56
	v_mul_f16_e64 v10, v231, v80
	v_mul_f16_e64 v9, v231, v43
	v_fma_f16 v31, v31, v74, -v1
	v_add_f16_e32 v1, v85, v90
	v_lshrrev_b32_e32 v24, 16, v2
	v_fmac_f16_e32 v93, v13, v26
	v_fmac_f16_e32 v12, v36, v56
	v_fma_f16 v8, v36, v76, -v8
	v_fmac_f16_e32 v10, v37, v43
	v_fma_f16 v9, v37, v80, -v9
	v_mul_f16_e64 v14, v229, v81
	v_mul_f16_e64 v11, v229, v58
	;; [unrolled: 1-line block ×3, first 2 shown]
	v_fma_f16 v1, -0.5, v1, v2
	v_sub_f16_e32 v37, v27, v45
	v_sub_f16_e32 v25, v75, v85
	;; [unrolled: 1-line block ×3, first 2 shown]
	v_add_f16_e32 v43, v75, v60
	v_mul_f16_e64 v52, v228, v62
	v_add_f16_e32 v15, v2, v75
	v_fmac_f16_e32 v14, v38, v58
	v_fma_f16 v13, v38, v81, -v11
	v_fmac_f16_e32 v36, v39, v62
	v_fmamk_f16 v11, v37, 0xbb9c, v1
	v_sub_f16_e32 v38, v59, v44
	v_add_f16_e32 v54, v25, v26
	v_fma_f16 v2, -0.5, v43, v2
	v_fma_f16 v26, v39, v84, -v52
	v_fmac_f16_e32 v1, 0x3b9c, v37
	v_sub_f16_e32 v39, v85, v75
	v_sub_f16_e32 v43, v90, v60
	v_add_f16_e32 v52, v24, v27
	v_add_f16_e32 v56, v59, v44
	v_fmac_f16_e32 v11, 0xb8b4, v38
	v_fmamk_f16 v25, v38, 0x3b9c, v2
	v_fmac_f16_e32 v1, 0x38b4, v38
	v_add_f16_e32 v39, v39, v43
	v_fmac_f16_e32 v2, 0xbb9c, v38
	v_add_f16_e32 v38, v52, v59
	v_fma_f16 v43, -0.5, v56, v24
	v_sub_f16_e32 v52, v75, v60
	v_add_f16_e32 v15, v15, v85
	v_fmac_f16_e32 v11, 0x34f2, v54
	v_fmac_f16_e32 v25, 0xb8b4, v37
	;; [unrolled: 1-line block ×4, first 2 shown]
	v_add_f16_e32 v37, v38, v44
	v_fmamk_f16 v38, v52, 0x3b9c, v43
	v_add_f16_e32 v54, v27, v45
	v_sub_f16_e32 v56, v85, v90
	v_sub_f16_e32 v57, v27, v59
	;; [unrolled: 1-line block ×3, first 2 shown]
	v_fmac_f16_e32 v43, 0xbb9c, v52
	v_sub_f16_e32 v27, v59, v27
	v_sub_f16_e32 v44, v44, v45
	v_add_f16_e32 v15, v15, v90
	v_fmac_f16_e32 v25, 0x34f2, v39
	v_fmac_f16_e32 v2, 0x34f2, v39
	v_fmac_f16_e32 v24, -0.5, v54
	v_add_f16_e32 v37, v37, v45
	v_fmac_f16_e32 v38, 0x38b4, v56
	v_add_f16_e32 v39, v57, v58
	v_add_f16_e32 v45, v93, v61
	v_fmac_f16_e32 v43, 0xb8b4, v56
	v_add_f16_e32 v27, v27, v44
	v_add_f16_e32 v44, v3, v89
	v_lshrrev_b32_e32 v22, 16, v3
	v_add_f16_e32 v15, v15, v60
	v_fmamk_f16 v54, v56, 0xbb9c, v24
	v_fmac_f16_e32 v38, 0x34f2, v39
	v_fma_f16 v45, -0.5, v45, v3
	v_sub_f16_e32 v57, v47, v46
	v_fmac_f16_e32 v43, 0x34f2, v39
	v_fmac_f16_e32 v24, 0x3b9c, v56
	v_add_f16_e32 v39, v44, v93
	v_add_f16_e32 v60, v89, v63
	v_fmac_f16_e32 v54, 0x38b4, v52
	v_fmamk_f16 v44, v57, 0xbb9c, v45
	v_sub_f16_e32 v56, v64, v49
	v_sub_f16_e32 v58, v89, v93
	;; [unrolled: 1-line block ×3, first 2 shown]
	v_fmac_f16_e32 v24, 0xb8b4, v52
	v_add_f16_e32 v39, v39, v61
	v_fmac_f16_e32 v3, -0.5, v60
	v_fmac_f16_e32 v45, 0x3b9c, v57
	v_add_f16_e32 v60, v22, v47
	v_fmac_f16_e32 v54, 0x34f2, v27
	v_fmac_f16_e32 v44, 0xb8b4, v56
	v_add_f16_e32 v52, v58, v59
	v_fmac_f16_e32 v24, 0x34f2, v27
	v_add_f16_e32 v27, v39, v63
	v_fmamk_f16 v39, v56, 0x3b9c, v3
	v_fmac_f16_e32 v45, 0x38b4, v56
	v_fmac_f16_e32 v3, 0xbb9c, v56
	v_add_f16_e32 v56, v60, v64
	v_fmac_f16_e32 v44, 0x34f2, v52
	v_sub_f16_e32 v58, v93, v89
	v_sub_f16_e32 v59, v61, v63
	v_add_f16_e32 v62, v64, v49
	v_fmac_f16_e32 v45, 0x34f2, v52
	v_add_f16_e32 v52, v56, v49
	v_fmac_f16_e32 v39, 0xb8b4, v57
	v_add_f16_e32 v58, v58, v59
	v_fma_f16 v59, -0.5, v62, v22
	v_sub_f16_e32 v60, v89, v63
	v_fmac_f16_e32 v3, 0x38b4, v57
	v_add_f16_e32 v57, v47, v46
	v_sub_f16_e32 v62, v47, v64
	v_sub_f16_e32 v63, v46, v49
	v_add_f16_e32 v52, v52, v46
	v_sub_f16_e32 v47, v64, v47
	v_sub_f16_e32 v46, v49, v46
	;; [unrolled: 1-line block ×3, first 2 shown]
	v_fmac_f16_e32 v22, -0.5, v57
	v_fmac_f16_e32 v39, 0x34f2, v58
	v_fmamk_f16 v56, v60, 0x3b9c, v59
	v_add_f16_e32 v46, v47, v46
	v_add_f16_e32 v47, v4, v65
	v_fmac_f16_e32 v3, 0x34f2, v58
	v_fmac_f16_e32 v59, 0xbb9c, v60
	v_fmamk_f16 v58, v61, 0xbb9c, v22
	v_add_f16_e32 v49, v66, v94
	v_fmac_f16_e32 v22, 0x3b9c, v61
	v_add_f16_e32 v47, v47, v66
	v_add_f16_e32 v67, v65, v48
	v_lshrrev_b32_e32 v23, 16, v4
	v_fmac_f16_e32 v56, 0x38b4, v61
	v_add_f16_e32 v57, v62, v63
	v_fmac_f16_e32 v59, 0xb8b4, v61
	v_fmac_f16_e32 v58, 0x38b4, v60
	v_fma_f16 v49, -0.5, v49, v4
	v_sub_f16_e32 v62, v32, v35
	v_sub_f16_e32 v61, v33, v34
	;; [unrolled: 1-line block ×4, first 2 shown]
	v_fmac_f16_e32 v22, 0xb8b4, v60
	v_add_f16_e32 v47, v47, v94
	v_fma_f16 v4, -0.5, v67, v4
	v_fmac_f16_e32 v56, 0x34f2, v57
	v_fmac_f16_e32 v59, 0x34f2, v57
	;; [unrolled: 1-line block ×3, first 2 shown]
	v_fmamk_f16 v57, v62, 0xbb9c, v49
	v_add_f16_e32 v60, v63, v64
	v_fmac_f16_e32 v22, 0x34f2, v46
	v_add_f16_e32 v46, v47, v48
	v_fmac_f16_e32 v49, 0x3b9c, v62
	v_fmamk_f16 v47, v61, 0x3b9c, v4
	v_sub_f16_e32 v63, v66, v65
	v_sub_f16_e32 v64, v94, v48
	v_add_f16_e32 v67, v23, v32
	v_add_f16_e32 v68, v33, v34
	v_fmac_f16_e32 v4, 0xbb9c, v61
	v_fmac_f16_e32 v57, 0xb8b4, v61
	;; [unrolled: 1-line block ×4, first 2 shown]
	v_add_f16_e32 v63, v63, v64
	v_add_f16_e32 v61, v67, v33
	v_fma_f16 v64, -0.5, v68, v23
	v_sub_f16_e32 v48, v65, v48
	v_fmac_f16_e32 v4, 0x38b4, v62
	v_add_f16_e32 v62, v32, v35
	v_sub_f16_e32 v65, v66, v94
	v_sub_f16_e32 v66, v32, v33
	;; [unrolled: 1-line block ×4, first 2 shown]
	v_fmac_f16_e32 v57, 0x34f2, v60
	v_fmac_f16_e32 v49, 0x34f2, v60
	v_add_f16_e32 v60, v61, v34
	v_fmamk_f16 v61, v48, 0x3b9c, v64
	v_sub_f16_e32 v67, v35, v34
	v_fmac_f16_e32 v23, -0.5, v62
	v_fmac_f16_e32 v64, 0xbb9c, v48
	v_add_f16_e32 v34, v51, v53
	v_add_f16_e32 v32, v32, v33
	;; [unrolled: 1-line block ×3, first 2 shown]
	v_lshrrev_b32_e32 v21, 16, v5
	v_fmac_f16_e32 v47, 0x34f2, v63
	v_fmac_f16_e32 v4, 0x34f2, v63
	v_add_f16_e32 v60, v60, v35
	v_fmac_f16_e32 v61, 0x38b4, v65
	v_add_f16_e32 v62, v66, v67
	v_fmamk_f16 v63, v65, 0xbb9c, v23
	v_fmac_f16_e32 v64, 0xb8b4, v65
	v_fma_f16 v34, -0.5, v34, v5
	v_sub_f16_e32 v35, v28, v31
	v_fmac_f16_e32 v23, 0x3b9c, v65
	v_add_f16_e32 v33, v33, v51
	v_sub_f16_e32 v66, v50, v51
	v_sub_f16_e32 v67, v55, v53
	v_add_f16_e32 v68, v50, v55
	v_fmac_f16_e32 v61, 0x34f2, v62
	v_fmac_f16_e32 v63, 0x38b4, v48
	;; [unrolled: 1-line block ×3, first 2 shown]
	v_fmamk_f16 v62, v35, 0xbb9c, v34
	v_sub_f16_e32 v65, v29, v30
	v_fmac_f16_e32 v23, 0xb8b4, v48
	v_add_f16_e32 v33, v33, v53
	v_add_f16_e32 v48, v66, v67
	v_fmac_f16_e32 v5, -0.5, v68
	v_fmac_f16_e32 v34, 0x3b9c, v35
	v_sub_f16_e32 v66, v51, v50
	v_sub_f16_e32 v67, v53, v55
	v_add_f16_e32 v68, v21, v28
	v_add_f16_e32 v69, v29, v30
	v_fmac_f16_e32 v63, 0x34f2, v32
	v_fmac_f16_e32 v62, 0xb8b4, v65
	;; [unrolled: 1-line block ×3, first 2 shown]
	v_add_f16_e32 v32, v33, v55
	v_fmamk_f16 v33, v65, 0x3b9c, v5
	v_fmac_f16_e32 v34, 0x38b4, v65
	v_add_f16_e32 v66, v66, v67
	v_fmac_f16_e32 v5, 0xbb9c, v65
	v_add_f16_e32 v65, v68, v29
	v_fma_f16 v67, -0.5, v69, v21
	v_sub_f16_e32 v50, v50, v55
	v_add_f16_e32 v55, v28, v31
	v_fmac_f16_e32 v62, 0x34f2, v48
	v_fmac_f16_e32 v33, 0xb8b4, v35
	v_fmac_f16_e32 v34, 0x34f2, v48
	v_fmac_f16_e32 v5, 0x38b4, v35
	v_add_f16_e32 v35, v65, v30
	v_fmamk_f16 v48, v50, 0x3b9c, v67
	v_sub_f16_e32 v51, v51, v53
	v_sub_f16_e32 v53, v28, v29
	;; [unrolled: 1-line block ×3, first 2 shown]
	v_fmac_f16_e32 v21, -0.5, v55
	v_fmac_f16_e32 v67, 0xbb9c, v50
	v_sub_f16_e32 v28, v29, v28
	v_sub_f16_e32 v29, v30, v31
	v_add_f16_e32 v30, v10, v14
	v_add_f16_e32 v35, v35, v31
	v_fmac_f16_e32 v48, 0x38b4, v51
	v_add_f16_e32 v53, v53, v65
	v_fmamk_f16 v55, v51, 0xbb9c, v21
	v_fmac_f16_e32 v67, 0xb8b4, v51
	v_add_f16_e32 v28, v28, v29
	v_fmac_f16_e32 v21, 0x3b9c, v51
	v_add_f16_e32 v29, v0, v12
	v_fma_f16 v30, -0.5, v30, v0
	v_sub_f16_e32 v31, v8, v26
	v_fmac_f16_e32 v33, 0x34f2, v66
	v_fmac_f16_e32 v5, 0x34f2, v66
	v_fmac_f16_e32 v48, 0x34f2, v53
	v_fmac_f16_e32 v55, 0x38b4, v50
	v_fmac_f16_e32 v67, 0x34f2, v53
	v_fmac_f16_e32 v21, 0xb8b4, v50
	v_add_f16_e32 v29, v29, v10
	v_fmamk_f16 v50, v31, 0xbb9c, v30
	v_sub_f16_e32 v51, v9, v13
	v_sub_f16_e32 v53, v12, v10
	;; [unrolled: 1-line block ×3, first 2 shown]
	v_fmac_f16_e32 v30, 0x3b9c, v31
	v_add_f16_e32 v66, v12, v36
	v_lshrrev_b32_e32 v20, 16, v0
	v_add_f16_e32 v29, v29, v14
	v_fmac_f16_e32 v50, 0xb8b4, v51
	v_add_f16_e32 v53, v53, v65
	v_fmac_f16_e32 v30, 0x38b4, v51
	v_fmac_f16_e32 v0, -0.5, v66
	v_sub_f16_e32 v65, v10, v12
	v_sub_f16_e32 v66, v14, v36
	v_fmac_f16_e32 v55, 0x34f2, v28
	v_fmac_f16_e32 v21, 0x34f2, v28
	v_add_f16_e32 v28, v29, v36
	v_fmac_f16_e32 v50, 0x34f2, v53
	v_fmac_f16_e32 v30, 0x34f2, v53
	v_fmamk_f16 v29, v51, 0x3b9c, v0
	v_add_f16_e32 v53, v9, v13
	v_fmac_f16_e32 v0, 0xbb9c, v51
	v_add_f16_e32 v51, v20, v8
	v_sub_f16_e32 v12, v12, v36
	v_add_f16_e32 v36, v65, v66
	v_add_f16_e32 v65, v8, v26
	v_fma_f16 v53, -0.5, v53, v20
	v_fmac_f16_e32 v29, 0xb8b4, v31
	v_fmac_f16_e32 v0, 0x38b4, v31
	v_add_f16_e32 v31, v51, v9
	v_sub_f16_e32 v10, v10, v14
	v_fmac_f16_e32 v20, -0.5, v65
	v_fmamk_f16 v51, v12, 0x3b9c, v53
	v_fmac_f16_e32 v53, 0xbb9c, v12
	v_add_f16_e32 v14, v31, v13
	v_sub_f16_e32 v31, v8, v9
	v_fmamk_f16 v65, v10, 0xbb9c, v20
	v_sub_f16_e32 v8, v9, v8
	v_sub_f16_e32 v9, v13, v26
	v_fmac_f16_e32 v20, 0x3b9c, v10
	v_fmac_f16_e32 v29, 0x34f2, v36
	;; [unrolled: 1-line block ×3, first 2 shown]
	v_sub_f16_e32 v36, v26, v13
	v_fmac_f16_e32 v65, 0x38b4, v12
	v_add_f16_e32 v8, v8, v9
	v_fmac_f16_e32 v20, 0xb8b4, v12
	v_fmac_f16_e32 v51, 0x38b4, v10
	;; [unrolled: 1-line block ×3, first 2 shown]
	v_pack_b32_f16 v10, v11, v38
	v_pack_b32_f16 v11, v25, v54
	v_add_f16_e32 v13, v31, v36
	v_pack_b32_f16 v2, v2, v24
	v_pack_b32_f16 v1, v1, v43
	v_fmac_f16_e32 v65, 0x34f2, v8
	v_fmac_f16_e32 v20, 0x34f2, v8
	v_pack_b32_f16 v8, v15, v37
	v_pack_b32_f16 v12, v27, v52
	ds_store_b32 v77, v10 offset:1120
	ds_store_b32 v77, v11 offset:2240
	;; [unrolled: 1-line block ×4, first 2 shown]
	ds_store_2addr_b32 v77, v8, v12 offset1:56
	v_pack_b32_f16 v1, v44, v56
	v_pack_b32_f16 v11, v57, v61
	v_add_f16_e32 v9, v14, v26
	v_pack_b32_f16 v2, v39, v58
	v_pack_b32_f16 v12, v47, v63
	v_fmac_f16_e32 v51, 0x34f2, v13
	v_pack_b32_f16 v3, v3, v22
	v_pack_b32_f16 v4, v4, v23
	v_fmac_f16_e32 v53, 0x34f2, v13
	v_pack_b32_f16 v8, v45, v59
	v_pack_b32_f16 v13, v49, v64
	;; [unrolled: 1-line block ×4, first 2 shown]
	ds_store_2addr_b32 v17, v1, v11 offset0:80 offset1:136
	ds_store_2addr_b32 v7, v2, v12 offset0:104 offset1:160
	;; [unrolled: 1-line block ×5, first 2 shown]
	v_pack_b32_f16 v2, v33, v55
	v_pack_b32_f16 v4, v34, v67
	;; [unrolled: 1-line block ×8, first 2 shown]
	ds_store_b32 v77, v2 offset:2912
	ds_store_b32 v77, v3 offset:4032
	v_pack_b32_f16 v2, v30, v53
	ds_store_b32 v77, v4 offset:5152
	ds_store_b32 v77, v5 offset:896
	ds_store_2addr_b32 v17, v1, v8 offset0:192 offset1:248
	ds_store_b32 v77, v9 offset:3136
	ds_store_b32 v77, v0 offset:4256
	;; [unrolled: 1-line block ×3, first 2 shown]
	global_wb scope:SCOPE_SE
	s_wait_dscnt 0x0
	s_barrier_signal -1
	s_barrier_wait -1
	global_inv scope:SCOPE_SE
	ds_load_2addr_b32 v[0:1], v77 offset1:56
	ds_load_2addr_b32 v[8:9], v7 offset0:188 offset1:244
	s_wait_dscnt 0x1
	v_lshrrev_b32_e32 v4, 16, v0
	s_delay_alu instid0(VALU_DEP_1) | instskip(NEXT) | instid1(VALU_DEP_1)
	v_mul_f16_e32 v2, v127, v4
	v_fmac_f16_e32 v2, v125, v0
	v_mul_f16_e32 v0, v127, v0
	s_delay_alu instid0(VALU_DEP_2) | instskip(NEXT) | instid1(VALU_DEP_2)
	v_cvt_f32_f16_e32 v2, v2
	v_fma_f16 v0, v125, v4, -v0
	s_delay_alu instid0(VALU_DEP_2) | instskip(NEXT) | instid1(VALU_DEP_2)
	v_cvt_f64_f32_e32 v[2:3], v2
	v_cvt_f32_f16_e32 v0, v0
	s_delay_alu instid0(VALU_DEP_1) | instskip(SKIP_2) | instid1(VALU_DEP_1)
	v_cvt_f64_f32_e32 v[4:5], v0
	s_wait_dscnt 0x0
	v_lshrrev_b32_e32 v0, 16, v8
	v_mul_f16_e32 v10, v126, v0
	s_delay_alu instid0(VALU_DEP_1) | instskip(SKIP_1) | instid1(VALU_DEP_2)
	v_fmac_f16_e32 v10, v124, v8
	v_mul_f16_e32 v8, v126, v8
	v_cvt_f32_f16_e32 v10, v10
	s_delay_alu instid0(VALU_DEP_2) | instskip(NEXT) | instid1(VALU_DEP_1)
	v_fma_f16 v0, v124, v0, -v8
	v_cvt_f32_f16_e32 v0, v0
	s_wait_alu 0xfffe
	v_mul_f64_e32 v[2:3], s[10:11], v[2:3]
	v_mul_f64_e32 v[4:5], s[10:11], v[4:5]
	s_delay_alu instid0(VALU_DEP_2) | instskip(SKIP_2) | instid1(VALU_DEP_3)
	v_and_or_b32 v2, 0x1ff, v3, v2
	v_lshrrev_b32_e32 v11, 8, v3
	v_bfe_u32 v12, v3, 20, 11
	v_cmp_ne_u32_e64 s0, 0, v2
	v_and_or_b32 v4, 0x1ff, v5, v4
	s_delay_alu instid0(VALU_DEP_3)
	v_sub_nc_u32_e32 v13, 0x3f1, v12
	v_lshrrev_b32_e32 v20, 8, v5
	v_bfe_u32 v21, v5, 20, 11
	s_wait_alu 0xf1ff
	v_cndmask_b32_e64 v2, 0, 1, s0
	v_cmp_ne_u32_e64 s0, 0, v4
	v_med3_i32 v13, v13, 0, 13
	v_add_nc_u32_e32 v22, 0xfffffc10, v12
	v_add_nc_u32_e32 v25, 0xfffffc10, v21
	v_and_or_b32 v2, 0xffe, v11, v2
	v_cvt_f64_f32_e32 v[10:11], v10
	s_wait_alu 0xf1ff
	v_cndmask_b32_e64 v4, 0, 1, s0
	v_lshrrev_b32_e32 v5, 16, v5
	v_or_b32_e32 v14, 0x1000, v2
	s_delay_alu instid0(VALU_DEP_3) | instskip(NEXT) | instid1(VALU_DEP_2)
	v_and_or_b32 v4, 0xffe, v20, v4
	v_lshrrev_b32_e32 v15, v13, v14
	s_delay_alu instid0(VALU_DEP_2) | instskip(NEXT) | instid1(VALU_DEP_2)
	v_or_b32_e32 v20, 0x1000, v4
	v_lshlrev_b32_e32 v8, v13, v15
	v_cvt_f64_f32_e32 v[12:13], v0
	v_sub_nc_u32_e32 v0, 0x3f1, v21
	s_delay_alu instid0(VALU_DEP_3) | instskip(SKIP_1) | instid1(VALU_DEP_3)
	v_cmp_ne_u32_e64 s0, v8, v14
	v_lshl_or_b32 v14, v22, 12, v2
	v_med3_i32 v0, v0, 0, 13
	s_wait_alu 0xf1ff
	s_delay_alu instid0(VALU_DEP_3) | instskip(SKIP_1) | instid1(VALU_DEP_3)
	v_cndmask_b32_e64 v8, 0, 1, s0
	v_cmp_gt_i32_e64 s0, 1, v22
	v_lshrrev_b32_e32 v23, v0, v20
	s_delay_alu instid0(VALU_DEP_3) | instskip(NEXT) | instid1(VALU_DEP_2)
	v_or_b32_e32 v8, v15, v8
	v_lshlrev_b32_e32 v0, v0, v23
	s_wait_alu 0xf1ff
	s_delay_alu instid0(VALU_DEP_2) | instskip(SKIP_1) | instid1(VALU_DEP_3)
	v_cndmask_b32_e64 v8, v14, v8, s0
	v_mad_co_u64_u32 v[14:15], null, s6, v42, 0
	v_cmp_ne_u32_e64 s1, v0, v20
	v_mul_f64_e32 v[10:11], s[10:11], v[10:11]
	s_delay_alu instid0(VALU_DEP_4)
	v_and_b32_e32 v24, 7, v8
	v_lshrrev_b32_e32 v8, 2, v8
	s_wait_alu 0xf1ff
	v_cndmask_b32_e64 v20, 0, 1, s1
	v_mov_b32_e32 v0, v15
	v_cmp_lt_i32_e64 s0, 5, v24
	v_cmp_eq_u32_e64 s1, 3, v24
	s_delay_alu instid0(VALU_DEP_4) | instskip(SKIP_1) | instid1(VALU_DEP_3)
	v_or_b32_e32 v15, v23, v20
	v_lshl_or_b32 v20, v25, 12, v4
	s_or_b32 s0, s1, s0
	s_wait_alu 0xfffe
	v_add_co_ci_u32_e64 v8, s0, 0, v8, s0
	v_cmp_ne_u32_e64 s0, 0, v2
	v_mul_f64_e32 v[12:13], s[10:11], v[12:13]
	s_wait_alu 0xf1ff
	s_delay_alu instid0(VALU_DEP_2) | instskip(SKIP_1) | instid1(VALU_DEP_2)
	v_cndmask_b32_e64 v2, 0, 1, s0
	v_cmp_gt_i32_e64 s0, 1, v25
	v_lshl_or_b32 v2, v2, 9, 0x7c00
	s_wait_alu 0xf1ff
	s_delay_alu instid0(VALU_DEP_2) | instskip(SKIP_2) | instid1(VALU_DEP_3)
	v_cndmask_b32_e64 v15, v20, v15, s0
	v_cmp_gt_i32_e64 s0, 31, v22
	v_mad_co_u64_u32 v[20:21], null, s7, v42, v[0:1]
	v_and_b32_e32 v23, 7, v15
	s_wait_alu 0xf1ff
	s_delay_alu instid0(VALU_DEP_3) | instskip(SKIP_1) | instid1(VALU_DEP_3)
	v_cndmask_b32_e64 v8, 0x7c00, v8, s0
	v_cmp_eq_u32_e64 s0, 0x40f, v22
	v_cmp_eq_u32_e64 s1, 3, v23
	v_lshrrev_b32_e32 v21, 8, v11
	s_wait_alu 0xf1ff
	s_delay_alu instid0(VALU_DEP_3)
	v_cndmask_b32_e64 v0, v8, v2, s0
	v_cmp_lt_i32_e64 s0, 5, v23
	v_lshrrev_b32_e32 v2, 2, v15
	v_lshrrev_b32_e32 v8, 16, v3
	v_and_or_b32 v3, 0x1ff, v11, v10
	v_lshrrev_b32_e32 v10, 16, v1
	s_or_b32 s0, s1, s0
	v_bfe_u32 v22, v11, 20, 11
	s_wait_alu 0xfffe
	v_add_co_ci_u32_e64 v2, s0, 0, v2, s0
	v_cmp_ne_u32_e64 s0, 0, v4
	v_mul_f16_e32 v15, v123, v10
	v_and_or_b32 v8, 0x8000, v8, v0
	v_lshrrev_b32_e32 v11, 16, v11
	s_wait_alu 0xf1ff
	v_cndmask_b32_e64 v4, 0, 1, s0
	v_cmp_ne_u32_e64 s0, 0, v3
	v_fmac_f16_e32 v15, v121, v1
	v_and_or_b32 v12, 0x1ff, v13, v12
	v_bfe_u32 v27, v13, 20, 11
	v_lshl_or_b32 v4, v4, 9, 0x7c00
	s_wait_alu 0xf1ff
	v_cndmask_b32_e64 v3, 0, 1, s0
	v_cmp_gt_i32_e64 s0, 31, v25
	v_mul_f16_e32 v1, v123, v1
	s_delay_alu instid0(VALU_DEP_3) | instskip(SKIP_1) | instid1(VALU_DEP_3)
	v_and_or_b32 v23, 0xffe, v21, v3
	s_wait_alu 0xf1ff
	v_cndmask_b32_e64 v2, 0x7c00, v2, s0
	v_cvt_f32_f16_e32 v3, v15
	v_cmp_eq_u32_e64 s0, 0x40f, v25
	v_sub_nc_u32_e32 v21, 0x3f1, v22
	v_or_b32_e32 v24, 0x1000, v23
	v_fma_f16 v1, v121, v10, -v1
	v_mov_b32_e32 v15, v20
	s_wait_alu 0xf1ff
	v_cndmask_b32_e64 v4, v2, v4, s0
	v_cvt_f64_f32_e32 v[2:3], v3
	v_cmp_ne_u32_e64 s0, 0, v12
	v_med3_i32 v21, v21, 0, 13
	v_lshrrev_b32_e32 v12, 8, v13
	v_and_or_b32 v25, 0x8000, v5, v4
	v_mad_co_u64_u32 v[4:5], null, s4, v117, 0
	s_wait_alu 0xf1ff
	v_cndmask_b32_e64 v0, 0, 1, s0
	v_lshrrev_b32_e32 v26, v21, v24
	s_delay_alu instid0(VALU_DEP_2) | instskip(SKIP_1) | instid1(VALU_DEP_3)
	v_and_or_b32 v12, 0xffe, v12, v0
	v_sub_nc_u32_e32 v0, 0x3f1, v27
	v_lshlrev_b32_e32 v10, v21, v26
	s_delay_alu instid0(VALU_DEP_3) | instskip(NEXT) | instid1(VALU_DEP_3)
	v_or_b32_e32 v28, 0x1000, v12
	v_med3_i32 v29, v0, 0, 13
	v_cvt_f32_f16_e32 v0, v1
	s_delay_alu instid0(VALU_DEP_4) | instskip(SKIP_1) | instid1(VALU_DEP_4)
	v_cmp_ne_u32_e64 s0, v10, v24
	v_add_nc_u32_e32 v10, 0xfffffc10, v22
	v_lshrrev_b32_e32 v22, v29, v28
	s_delay_alu instid0(VALU_DEP_4)
	v_cvt_f64_f32_e32 v[20:21], v0
	s_wait_alu 0xf1ff
	v_cndmask_b32_e64 v1, 0, 1, s0
	v_mov_b32_e32 v0, v5
	v_lshl_or_b32 v24, v10, 12, v23
	v_cmp_gt_i32_e64 s0, 1, v10
	s_delay_alu instid0(VALU_DEP_4)
	v_or_b32_e32 v5, v26, v1
	v_lshlrev_b32_e32 v26, v29, v22
	v_mad_co_u64_u32 v[0:1], null, s5, v117, v[0:1]
	v_and_b32_e32 v1, 0xffff, v8
	s_wait_alu 0xf1ff
	v_cndmask_b32_e64 v8, v24, v5, s0
	v_cmp_ne_u32_e64 s0, v26, v28
	v_add_nc_u32_e32 v26, 0xfffffc10, v27
	v_mul_f64_e32 v[2:3], s[10:11], v[2:3]
	v_lshl_or_b32 v25, v25, 16, v1
	v_and_b32_e32 v27, 7, v8
	s_wait_alu 0xf1ff
	v_cndmask_b32_e64 v24, 0, 1, s0
	v_cmp_gt_i32_e64 s2, 1, v26
	v_lshrrev_b32_e32 v8, 2, v8
	v_mov_b32_e32 v5, v0
	v_cmp_lt_i32_e64 s0, 5, v27
	v_or_b32_e32 v22, v22, v24
	v_lshl_or_b32 v24, v26, 12, v12
	v_cmp_eq_u32_e64 s1, 3, v27
	v_lshlrev_b64_e32 v[0:1], 2, v[14:15]
	v_lshlrev_b64_e32 v[4:5], 2, v[4:5]
	s_wait_alu 0xf1ff
	v_cndmask_b32_e64 v22, v24, v22, s2
	s_or_b32 s0, s1, s0
	v_lshrrev_b32_e32 v24, 16, v9
	s_wait_alu 0xfffe
	v_add_co_ci_u32_e64 v8, s0, 0, v8, s0
	v_and_b32_e32 v14, 7, v22
	v_cmp_ne_u32_e64 s0, 0, v23
	v_add_co_u32 v0, s2, s8, v0
	s_wait_alu 0xf1ff
	v_add_co_ci_u32_e64 v1, s2, s9, v1, s2
	s_delay_alu instid0(VALU_DEP_3)
	v_cndmask_b32_e64 v23, 0, 1, s0
	v_cmp_lt_i32_e64 s0, 5, v14
	v_cmp_eq_u32_e64 s1, 3, v14
	v_mul_f64_e32 v[14:15], s[10:11], v[20:21]
	v_lshrrev_b32_e32 v20, 2, v22
	v_cmp_gt_i32_e64 s2, 31, v10
	v_lshl_or_b32 v21, v23, 9, 0x7c00
	s_or_b32 s0, s1, s0
	v_mul_f16_e32 v22, v122, v24
	s_wait_alu 0xfffe
	v_add_co_ci_u32_e64 v20, s0, 0, v20, s0
	v_cndmask_b32_e64 v8, 0x7c00, v8, s2
	v_cmp_eq_u32_e64 s0, 0x40f, v10
	v_and_or_b32 v2, 0x1ff, v3, v2
	v_fmac_f16_e32 v22, v119, v9
	v_bfe_u32 v23, v3, 20, 11
	v_mul_f16_e32 v9, v122, v9
	s_wait_alu 0xf1ff
	v_cndmask_b32_e64 v8, v8, v21, s0
	v_cmp_gt_i32_e64 s0, 31, v26
	s_mul_u64 s[2:3], s[4:5], 0x2bc
	v_fma_f16 v9, v119, v24, -v9
	s_delay_alu instid0(VALU_DEP_3) | instskip(NEXT) | instid1(VALU_DEP_3)
	v_and_or_b32 v11, 0x8000, v11, v8
	v_cndmask_b32_e64 v10, 0x7c00, v20, s0
	v_cmp_ne_u32_e64 s0, 0, v12
	v_cvt_f32_f16_e32 v20, v22
	v_lshrrev_b32_e32 v22, 8, v3
	v_cvt_f32_f16_e32 v9, v9
	v_and_b32_e32 v29, 0xffff, v11
	s_wait_alu 0xf1ff
	v_cndmask_b32_e64 v12, 0, 1, s0
	v_cmp_ne_u32_e64 s0, 0, v2
	v_cvt_f64_f32_e32 v[20:21], v20
	s_wait_alu 0xfffe
	s_lshl_b64 s[6:7], s[2:3], 2
	v_lshrrev_b32_e32 v3, 16, v3
	v_lshl_or_b32 v12, v12, 9, 0x7c00
	v_cndmask_b32_e64 v2, 0, 1, s0
	v_cmp_eq_u32_e64 s0, 0x40f, v26
	s_delay_alu instid0(VALU_DEP_2) | instskip(SKIP_2) | instid1(VALU_DEP_3)
	v_and_or_b32 v2, 0xffe, v22, v2
	v_sub_nc_u32_e32 v22, 0x3f1, v23
	s_wait_alu 0xf1ff
	v_cndmask_b32_e64 v10, v10, v12, s0
	v_lshrrev_b32_e32 v12, 16, v13
	v_and_or_b32 v14, 0x1ff, v15, v14
	v_or_b32_e32 v13, 0x1000, v2
	v_med3_i32 v22, v22, 0, 13
	v_add_co_u32 v4, s0, v0, v4
	s_wait_alu 0xf1ff
	v_add_co_ci_u32_e64 v5, s0, v1, v5, s0
	s_delay_alu instid0(VALU_DEP_3)
	v_lshrrev_b32_e32 v8, v22, v13
	v_and_or_b32 v26, 0x8000, v12, v10
	v_cmp_ne_u32_e64 s0, 0, v14
	v_lshrrev_b32_e32 v14, 8, v15
	v_add_nc_u32_e32 v23, 0xfffffc10, v23
	v_lshlrev_b32_e32 v10, v22, v8
	v_bfe_u32 v22, v15, 20, 11
	s_wait_alu 0xf1ff
	v_cndmask_b32_e64 v12, 0, 1, s0
	v_lshl_or_b32 v26, v26, 16, v29
	v_lshl_or_b32 v24, v23, 12, v2
	v_cmp_ne_u32_e64 s0, v10, v13
	v_lshrrev_b32_e32 v15, 16, v15
	v_and_or_b32 v14, 0xffe, v14, v12
	v_sub_nc_u32_e32 v12, 0x3f1, v22
	s_wait_alu 0xf1ff
	v_cndmask_b32_e64 v10, 0, 1, s0
	v_cmp_gt_i32_e64 s0, 1, v23
	v_or_b32_e32 v27, 0x1000, v14
	v_med3_i32 v28, v12, 0, 13
	s_delay_alu instid0(VALU_DEP_4) | instskip(SKIP_2) | instid1(VALU_DEP_4)
	v_or_b32_e32 v13, v8, v10
	v_cvt_f64_f32_e32 v[8:9], v9
	v_mul_f64_e32 v[10:11], s[10:11], v[20:21]
	v_lshrrev_b32_e32 v30, v28, v27
	s_wait_alu 0xf1ff
	v_cndmask_b32_e64 v24, v24, v13, s0
	ds_load_2addr_b32 v[12:13], v77 offset0:112 offset1:168
	s_wait_alu 0xfffe
	v_add_co_u32 v20, s0, v4, s6
	v_lshlrev_b32_e32 v28, v28, v30
	v_and_b32_e32 v29, 7, v24
	s_wait_alu 0xf1ff
	v_add_co_ci_u32_e64 v21, s0, s7, v5, s0
	v_lshrrev_b32_e32 v24, 2, v24
	v_cmp_ne_u32_e64 s2, v28, v27
	v_cmp_lt_i32_e64 s0, 5, v29
	v_cmp_eq_u32_e64 s1, 3, v29
	v_add_nc_u32_e32 v28, 0xfffffc10, v22
	s_clause 0x1
	global_store_b32 v[4:5], v25, off
	global_store_b32 v[20:21], v26, off
	s_wait_alu 0xf1ff
	v_cndmask_b32_e64 v27, 0, 1, s2
	s_or_b32 s0, s1, s0
	s_wait_alu 0xfffe
	v_add_co_ci_u32_e64 v22, s0, 0, v24, s0
	v_cmp_ne_u32_e64 s0, 0, v2
	v_or_b32_e32 v24, v30, v27
	v_lshl_or_b32 v27, v28, 12, v14
	s_wait_dscnt 0x0
	v_lshrrev_b32_e32 v29, 16, v12
	s_wait_alu 0xf1ff
	v_cndmask_b32_e64 v2, 0, 1, s0
	v_cmp_gt_i32_e64 s0, 1, v28
	s_delay_alu instid0(VALU_DEP_2) | instskip(SKIP_1) | instid1(VALU_DEP_2)
	v_lshl_or_b32 v2, v2, 9, 0x7c00
	s_wait_alu 0xf1ff
	v_cndmask_b32_e64 v24, v27, v24, s0
	v_mul_f16_e32 v27, v120, v29
	v_cmp_gt_i32_e64 s0, 31, v23
	v_mul_f64_e32 v[8:9], s[10:11], v[8:9]
	v_and_or_b32 v10, 0x1ff, v11, v10
	v_and_b32_e32 v30, 7, v24
	v_fmac_f16_e32 v27, v116, v12
	s_wait_alu 0xf1ff
	v_cndmask_b32_e64 v22, 0x7c00, v22, s0
	v_cmp_eq_u32_e64 s0, 0x40f, v23
	v_lshrrev_b32_e32 v24, 2, v24
	v_cmp_eq_u32_e64 s1, 3, v30
	v_cmp_ne_u32_e64 s2, 0, v10
	s_wait_alu 0xf1ff
	v_cndmask_b32_e64 v2, v22, v2, s0
	v_cvt_f32_f16_e32 v22, v27
	v_cmp_lt_i32_e64 s0, 5, v30
	v_cndmask_b32_e64 v10, 0, 1, s2
	v_lshrrev_b32_e32 v27, 8, v11
	v_bfe_u32 v30, v11, 20, 11
	v_cvt_f64_f32_e32 v[22:23], v22
	s_or_b32 s0, s1, s0
	v_and_or_b32 v25, 0x8000, v3, v2
	s_wait_alu 0xfffe
	v_add_co_ci_u32_e64 v24, s0, 0, v24, s0
	v_cmp_ne_u32_e64 s0, 0, v14
	v_and_or_b32 v10, 0xffe, v27, v10
	v_sub_nc_u32_e32 v27, 0x3f1, v30
	v_mul_f16_e32 v3, v120, v12
	v_add_nc_u32_e32 v12, 0xfffffc10, v30
	s_wait_alu 0xf1ff
	v_cndmask_b32_e64 v14, 0, 1, s0
	v_cmp_gt_i32_e64 s0, 31, v28
	v_or_b32_e32 v31, 0x1000, v10
	v_med3_i32 v27, v27, 0, 13
	v_fma_f16 v5, v116, v29, -v3
	v_lshl_or_b32 v14, v14, 9, 0x7c00
	s_wait_alu 0xf1ff
	v_cndmask_b32_e64 v24, 0x7c00, v24, s0
	v_cmp_eq_u32_e64 s0, 0x40f, v28
	s_movk_i32 s2, 0xfd7c
	v_cvt_f32_f16_e32 v28, v5
	v_and_b32_e32 v25, 0xffff, v25
	s_mov_b32 s3, -1
	s_wait_alu 0xf1ff
	v_cndmask_b32_e64 v14, v24, v14, s0
	v_lshrrev_b32_e32 v24, v27, v31
	v_and_or_b32 v4, 0x1ff, v9, v8
	s_delay_alu instid0(VALU_DEP_3) | instskip(NEXT) | instid1(VALU_DEP_3)
	v_and_or_b32 v26, 0x8000, v15, v14
	v_lshlrev_b32_e32 v2, v27, v24
	v_lshrrev_b32_e32 v15, 8, v9
	v_bfe_u32 v27, v9, 20, 11
	v_lshrrev_b32_e32 v9, 16, v9
	v_lshl_or_b32 v25, v26, 16, v25
	v_cmp_ne_u32_e64 s0, v2, v31
	ds_load_2addr_b32 v[2:3], v18 offset0:44 offset1:100
	s_wait_alu 0xf1ff
	v_cndmask_b32_e64 v8, 0, 1, s0
	v_cmp_ne_u32_e64 s0, 0, v4
	v_mul_f64_e32 v[4:5], s[10:11], v[22:23]
	v_lshl_or_b32 v22, v12, 12, v10
	v_sub_nc_u32_e32 v23, 0x3f1, v27
	v_or_b32_e32 v8, v24, v8
	s_wait_alu 0xf1ff
	v_cndmask_b32_e64 v14, 0, 1, s0
	v_cmp_gt_i32_e64 s0, 1, v12
	v_add_nc_u32_e32 v27, 0xfffffc10, v27
	v_med3_i32 v23, v23, 0, 13
	s_delay_alu instid0(VALU_DEP_4)
	v_and_or_b32 v24, 0xffe, v15, v14
	v_cvt_f64_f32_e32 v[14:15], v28
	s_wait_alu 0xf1ff
	v_cndmask_b32_e64 v8, v22, v8, s0
	s_wait_alu 0xfffe
	s_mul_u64 s[0:1], s[4:5], s[2:3]
	v_or_b32_e32 v22, 0x1000, v24
	s_wait_alu 0xfffe
	s_lshl_b64 s[8:9], s[0:1], 2
	v_and_b32_e32 v26, 7, v8
	s_wait_dscnt 0x0
	v_lshrrev_b32_e32 v29, 16, v2
	s_wait_alu 0xfffe
	v_add_co_u32 v20, s0, v20, s8
	v_lshrrev_b32_e32 v28, v23, v22
	s_wait_alu 0xf1ff
	v_add_co_ci_u32_e64 v21, s0, s9, v21, s0
	v_cmp_lt_i32_e64 s0, 5, v26
	v_cmp_eq_u32_e64 s1, 3, v26
	v_lshlrev_b32_e32 v23, v23, v28
	v_mul_f16_e32 v26, v118, v29
	v_lshrrev_b32_e32 v8, 2, v8
	global_store_b32 v[20:21], v25, off
	s_or_b32 s0, s1, s0
	v_cmp_ne_u32_e64 s2, v23, v22
	v_fmac_f16_e32 v26, v114, v2
	s_wait_alu 0xfffe
	v_add_co_ci_u32_e64 v8, s0, 0, v8, s0
	v_cmp_ne_u32_e64 s0, 0, v10
	s_wait_alu 0xf1ff
	v_cndmask_b32_e64 v22, 0, 1, s2
	v_mul_f16_e32 v2, v118, v2
	v_and_or_b32 v4, 0x1ff, v5, v4
	v_cndmask_b32_e64 v10, 0, 1, s0
	s_delay_alu instid0(VALU_DEP_4)
	v_or_b32_e32 v28, v28, v22
	v_cvt_f32_f16_e32 v22, v26
	v_lshl_or_b32 v26, v27, 12, v24
	v_cmp_gt_i32_e64 s0, 1, v27
	v_lshl_or_b32 v10, v10, 9, 0x7c00
	v_bfe_u32 v30, v5, 20, 11
	v_cvt_f64_f32_e32 v[22:23], v22
	v_fma_f16 v2, v114, v29, -v2
	s_wait_alu 0xf1ff
	v_cndmask_b32_e64 v26, v26, v28, s0
	v_cmp_ne_u32_e64 s0, 0, v4
	v_mul_f64_e32 v[14:15], s[10:11], v[14:15]
	v_lshrrev_b32_e32 v28, 8, v5
	v_cvt_f32_f16_e32 v2, v2
	v_and_b32_e32 v31, 7, v26
	s_wait_alu 0xf1ff
	v_cndmask_b32_e64 v4, 0, 1, s0
	v_cmp_gt_i32_e64 s0, 31, v12
	v_add_nc_u32_e32 v29, 0xfffffc10, v30
	v_lshrrev_b32_e32 v32, 16, v5
	v_cmp_eq_u32_e64 s1, 3, v31
	v_and_or_b32 v4, 0xffe, v28, v4
	s_wait_alu 0xf1ff
	v_cndmask_b32_e64 v8, 0x7c00, v8, s0
	v_cmp_eq_u32_e64 s0, 0x40f, v12
	v_sub_nc_u32_e32 v28, 0x3f1, v30
	s_wait_alu 0xf1ff
	s_delay_alu instid0(VALU_DEP_2) | instskip(SKIP_4) | instid1(VALU_DEP_4)
	v_cndmask_b32_e64 v8, v8, v10, s0
	v_lshrrev_b32_e32 v10, 16, v11
	v_cmp_lt_i32_e64 s0, 5, v31
	v_or_b32_e32 v11, 0x1000, v4
	v_med3_i32 v12, v28, 0, 13
	v_and_or_b32 v8, 0x8000, v10, v8
	v_lshrrev_b32_e32 v10, 2, v26
	s_or_b32 s0, s1, s0
	s_delay_alu instid0(VALU_DEP_3) | instskip(NEXT) | instid1(VALU_DEP_3)
	v_lshrrev_b32_e32 v26, v12, v11
	v_and_b32_e32 v8, 0xffff, v8
	s_wait_alu 0xfffe
	v_add_co_ci_u32_e64 v10, s0, 0, v10, s0
	v_cmp_ne_u32_e64 s0, 0, v24
	v_lshlrev_b32_e32 v12, v12, v26
	s_wait_alu 0xf1ff
	s_delay_alu instid0(VALU_DEP_2) | instskip(SKIP_1) | instid1(VALU_DEP_2)
	v_cndmask_b32_e64 v24, 0, 1, s0
	v_cmp_gt_i32_e64 s0, 31, v27
	v_lshl_or_b32 v24, v24, 9, 0x7c00
	s_wait_alu 0xf1ff
	s_delay_alu instid0(VALU_DEP_2)
	v_cndmask_b32_e64 v28, 0x7c00, v10, s0
	v_cmp_ne_u32_e64 s0, v12, v11
	v_mul_f64_e32 v[10:11], s[10:11], v[22:23]
	v_cvt_f64_f32_e32 v[22:23], v2
	v_and_or_b32 v2, 0x1ff, v15, v14
	s_wait_alu 0xf1ff
	v_cndmask_b32_e64 v12, 0, 1, s0
	v_cmp_eq_u32_e64 s0, 0x40f, v27
	v_bfe_u32 v27, v15, 20, 11
	s_delay_alu instid0(VALU_DEP_3) | instskip(SKIP_1) | instid1(VALU_DEP_3)
	v_or_b32_e32 v12, v26, v12
	s_wait_alu 0xf1ff
	v_cndmask_b32_e64 v14, v28, v24, s0
	v_cmp_ne_u32_e64 s0, 0, v2
	v_lshl_or_b32 v24, v29, 12, v4
	v_lshrrev_b32_e32 v26, 8, v15
	v_lshrrev_b32_e32 v28, 16, v13
	v_and_or_b32 v9, 0x8000, v9, v14
	s_wait_alu 0xf1ff
	v_cndmask_b32_e64 v2, 0, 1, s0
	v_cmp_gt_i32_e64 s0, 1, v29
	v_mul_f16_e32 v30, v115, v28
	v_lshl_or_b32 v25, v9, 16, v8
	s_delay_alu instid0(VALU_DEP_4)
	v_and_or_b32 v2, 0xffe, v26, v2
	s_wait_alu 0xf1ff
	v_cndmask_b32_e64 v12, v24, v12, s0
	v_sub_nc_u32_e32 v24, 0x3f1, v27
	v_add_co_u32 v8, s2, v20, s6
	v_or_b32_e32 v26, 0x1000, v2
	s_delay_alu instid0(VALU_DEP_4) | instskip(NEXT) | instid1(VALU_DEP_4)
	v_and_b32_e32 v14, 7, v12
	v_med3_i32 v24, v24, 0, 13
	v_lshrrev_b32_e32 v12, 2, v12
	s_wait_alu 0xf1ff
	v_add_co_ci_u32_e64 v9, s2, s7, v21, s2
	v_cmp_lt_i32_e64 s0, 5, v14
	v_cmp_eq_u32_e64 s1, 3, v14
	v_lshrrev_b32_e32 v14, v24, v26
	v_fmac_f16_e32 v30, v112, v13
	global_store_b32 v[8:9], v25, off
	s_or_b32 s0, s1, s0
	v_lshlrev_b32_e32 v24, v24, v14
	v_mul_f64_e32 v[20:21], s[10:11], v[22:23]
	s_wait_alu 0xfffe
	v_add_co_ci_u32_e64 v12, s0, 0, v12, s0
	v_and_or_b32 v10, 0x1ff, v11, v10
	v_cmp_ne_u32_e64 s0, v24, v26
	v_cvt_f32_f16_e32 v23, v30
	v_add_nc_u32_e32 v24, 0xfffffc10, v27
	v_lshrrev_b32_e32 v26, 8, v11
	v_bfe_u32 v27, v11, 20, 11
	s_wait_alu 0xf1ff
	v_cndmask_b32_e64 v22, 0, 1, s0
	v_cmp_ne_u32_e64 s0, 0, v10
	v_lshl_or_b32 v30, v24, 12, v2
	v_lshrrev_b32_e32 v11, 16, v11
	s_delay_alu instid0(VALU_DEP_4) | instskip(SKIP_4) | instid1(VALU_DEP_3)
	v_or_b32_e32 v14, v14, v22
	s_wait_alu 0xf1ff
	v_cndmask_b32_e64 v10, 0, 1, s0
	v_cmp_ne_u32_e64 s0, 0, v4
	v_cvt_f64_f32_e32 v[22:23], v23
	v_and_or_b32 v10, 0xffe, v26, v10
	s_wait_alu 0xf1ff
	s_delay_alu instid0(VALU_DEP_3) | instskip(SKIP_2) | instid1(VALU_DEP_3)
	v_cndmask_b32_e64 v4, 0, 1, s0
	v_cmp_gt_i32_e64 s0, 1, v24
	v_sub_nc_u32_e32 v26, 0x3f1, v27
	v_lshl_or_b32 v4, v4, 9, 0x7c00
	s_wait_alu 0xf1ff
	s_delay_alu instid0(VALU_DEP_3) | instskip(SKIP_3) | instid1(VALU_DEP_4)
	v_cndmask_b32_e64 v14, v30, v14, s0
	v_cmp_gt_i32_e64 s0, 31, v29
	v_or_b32_e32 v30, 0x1000, v10
	v_med3_i32 v26, v26, 0, 13
	v_and_b32_e32 v25, 7, v14
	s_wait_alu 0xf1ff
	v_cndmask_b32_e64 v12, 0x7c00, v12, s0
	v_cmp_eq_u32_e64 s0, 0x40f, v29
	v_lshrrev_b32_e32 v31, v26, v30
	v_cmp_eq_u32_e64 s1, 3, v25
	s_wait_alu 0xf1ff
	s_delay_alu instid0(VALU_DEP_3)
	v_cndmask_b32_e64 v29, v12, v4, s0
	v_cmp_lt_i32_e64 s0, 5, v25
	v_lshrrev_b32_e32 v12, 2, v14
	v_mul_f16_e32 v4, v115, v13
	v_lshlrev_b32_e32 v5, v26, v31
	v_and_or_b32 v13, 0x1ff, v21, v20
	s_or_b32 s0, s1, s0
	v_add_nc_u32_e32 v25, 0xfffffc10, v27
	s_wait_alu 0xfffe
	v_add_co_ci_u32_e64 v14, s0, 0, v12, s0
	v_cmp_ne_u32_e64 s2, v5, v30
	v_cmp_ne_u32_e64 s0, 0, v13
	v_fma_f16 v4, v112, v28, -v4
	v_lshl_or_b32 v26, v25, 12, v10
	s_wait_alu 0xf1ff
	v_cndmask_b32_e64 v5, 0, 1, s2
	v_cndmask_b32_e64 v27, 0, 1, s0
	v_cmp_ne_u32_e64 s0, 0, v2
	v_cvt_f32_f16_e32 v4, v4
	v_mul_f64_e32 v[12:13], s[10:11], v[22:23]
	v_or_b32_e32 v20, v31, v5
	v_lshrrev_b32_e32 v22, 8, v21
	s_wait_alu 0xf1ff
	v_cndmask_b32_e64 v2, 0, 1, s0
	v_cmp_gt_i32_e64 s0, 1, v25
	v_bfe_u32 v23, v21, 20, 11
	v_cvt_f64_f32_e32 v[4:5], v4
	v_and_or_b32 v22, 0xffe, v22, v27
	v_lshl_or_b32 v2, v2, 9, 0x7c00
	s_wait_alu 0xf1ff
	v_cndmask_b32_e64 v20, v26, v20, s0
	v_cmp_gt_i32_e64 s0, 31, v24
	v_sub_nc_u32_e32 v26, 0x3f1, v23
	v_or_b32_e32 v28, 0x1000, v22
	s_delay_alu instid0(VALU_DEP_4)
	v_and_b32_e32 v27, 7, v20
	s_wait_alu 0xf1ff
	v_cndmask_b32_e64 v14, 0x7c00, v14, s0
	v_cmp_eq_u32_e64 s0, 0x40f, v24
	v_med3_i32 v26, v26, 0, 13
	v_cmp_eq_u32_e64 s1, 3, v27
	s_wait_alu 0xf1ff
	s_delay_alu instid0(VALU_DEP_3)
	v_cndmask_b32_e64 v2, v14, v2, s0
	v_lshrrev_b32_e32 v14, 16, v15
	v_lshrrev_b32_e32 v24, v26, v28
	v_cmp_lt_i32_e64 s0, 5, v27
	v_and_or_b32 v15, 0x8000, v32, v29
	v_lshrrev_b32_e32 v27, 16, v3
	v_and_or_b32 v2, 0x8000, v14, v2
	v_lshrrev_b32_e32 v14, 2, v20
	v_lshlrev_b32_e32 v20, v26, v24
	s_or_b32 s0, s1, s0
	v_and_b32_e32 v26, 0xffff, v15
	v_lshrrev_b32_e32 v32, 16, v100
	s_wait_alu 0xfffe
	v_add_co_ci_u32_e64 v14, s0, 0, v14, s0
	v_cmp_ne_u32_e64 s0, v20, v28
	v_add_nc_u32_e32 v20, 0xfffffc10, v23
	v_and_or_b32 v12, 0x1ff, v13, v12
	v_bfe_u32 v29, v13, 20, 11
	s_wait_alu 0xf1ff
	v_cndmask_b32_e64 v15, 0, 1, s0
	v_cmp_gt_i32_e64 s0, 31, v25
	v_mul_f64_e32 v[4:5], s[10:11], v[4:5]
	v_sub_nc_u32_e32 v30, 0x3f1, v29
	s_wait_alu 0xf1ff
	s_delay_alu instid0(VALU_DEP_3)
	v_cndmask_b32_e64 v23, 0x7c00, v14, s0
	v_cmp_ne_u32_e64 s0, 0, v10
	v_or_b32_e32 v14, v24, v15
	v_lshl_or_b32 v15, v20, 12, v22
	v_mul_f16_e32 v24, v113, v27
	s_wait_alu 0xf1ff
	v_cndmask_b32_e64 v10, 0, 1, s0
	v_cmp_gt_i32_e64 s0, 1, v20
	s_delay_alu instid0(VALU_DEP_3) | instskip(SKIP_1) | instid1(VALU_DEP_4)
	v_fmac_f16_e32 v24, v110, v3
	v_mul_f16_e32 v3, v113, v3
	v_lshl_or_b32 v10, v10, 9, 0x7c00
	s_wait_alu 0xf1ff
	v_cndmask_b32_e64 v28, v15, v14, s0
	v_cmp_ne_u32_e64 s0, 0, v12
	v_lshrrev_b32_e32 v14, 8, v13
	v_cvt_f32_f16_e32 v15, v24
	v_fma_f16 v3, v110, v27, -v3
	v_and_b32_e32 v24, 7, v28
	s_wait_alu 0xf1ff
	v_cndmask_b32_e64 v12, 0, 1, s0
	v_cmp_eq_u32_e64 s0, 0x40f, v25
	v_med3_i32 v25, v30, 0, 13
	v_cvt_f32_f16_e32 v30, v3
	v_cmp_eq_u32_e64 s1, 3, v24
	v_and_or_b32 v12, 0xffe, v14, v12
	v_cvt_f64_f32_e32 v[14:15], v15
	s_wait_alu 0xf1ff
	v_cndmask_b32_e64 v10, v23, v10, s0
	v_cmp_lt_i32_e64 s0, 5, v24
	v_lshl_or_b32 v24, v2, 16, v26
	v_lshrrev_b32_e32 v2, 2, v28
	v_or_b32_e32 v23, 0x1000, v12
	v_and_or_b32 v26, 0x8000, v11, v10
	s_or_b32 s0, s1, s0
	v_lshrrev_b32_e32 v13, 16, v13
	s_wait_alu 0xfffe
	v_add_co_ci_u32_e64 v2, s0, 0, v2, s0
	v_lshrrev_b32_e32 v10, v25, v23
	v_cmp_ne_u32_e64 s0, 0, v22
	v_bfe_u32 v28, v5, 20, 11
	s_delay_alu instid0(VALU_DEP_3) | instskip(SKIP_1) | instid1(VALU_DEP_3)
	v_lshlrev_b32_e32 v22, v25, v10
	s_wait_alu 0xf1ff
	v_cndmask_b32_e64 v11, 0, 1, s0
	v_cmp_gt_i32_e64 s0, 31, v20
	v_sub_nc_u32_e32 v27, 0x3f1, v28
	s_wait_alu 0xf1ff
	s_delay_alu instid0(VALU_DEP_2)
	v_cndmask_b32_e64 v25, 0x7c00, v2, s0
	v_and_or_b32 v2, 0x1ff, v5, v4
	v_cmp_ne_u32_e64 s0, v22, v23
	v_lshl_or_b32 v4, v11, 9, 0x7c00
	v_add_nc_u32_e32 v22, 0xfffffc10, v29
	v_lshrrev_b32_e32 v23, 8, v5
	v_med3_i32 v27, v27, 0, 13
	s_wait_alu 0xf1ff
	v_cndmask_b32_e64 v11, 0, 1, s0
	v_cmp_ne_u32_e64 s0, 0, v2
	s_delay_alu instid0(VALU_DEP_2) | instskip(SKIP_1) | instid1(VALU_DEP_2)
	v_or_b32_e32 v10, v10, v11
	s_wait_alu 0xf1ff
	v_cndmask_b32_e64 v2, 0, 1, s0
	v_lshl_or_b32 v11, v22, 12, v12
	v_cmp_gt_i32_e64 s0, 1, v22
	s_delay_alu instid0(VALU_DEP_3)
	v_and_or_b32 v23, 0xffe, v23, v2
	v_mul_f64_e32 v[2:3], s[10:11], v[14:15]
	v_cvt_f64_f32_e32 v[14:15], v30
	s_wait_alu 0xf1ff
	v_cndmask_b32_e64 v29, v11, v10, s0
	ds_load_2addr_b32 v[10:11], v19 offset0:96 offset1:152
	v_or_b32_e32 v31, 0x1000, v23
	v_cmp_eq_u32_e64 s0, 0x40f, v20
	v_lshrrev_b32_e32 v19, 16, v21
	v_and_b32_e32 v20, 7, v29
	s_delay_alu instid0(VALU_DEP_4)
	v_lshrrev_b32_e32 v21, v27, v31
	s_wait_alu 0xf1ff
	v_cndmask_b32_e64 v4, v25, v4, s0
	v_add_co_u32 v8, s0, v8, s8
	s_wait_alu 0xf1ff
	v_add_co_ci_u32_e64 v9, s0, s9, v9, s0
	s_delay_alu instid0(VALU_DEP_3)
	v_and_or_b32 v4, 0x8000, v19, v4
	v_lshlrev_b32_e32 v19, v27, v21
	v_cmp_lt_i32_e64 s0, 5, v20
	v_cmp_eq_u32_e64 s1, 3, v20
	v_lshrrev_b32_e32 v20, 2, v29
	v_and_b32_e32 v25, 0xffff, v26
	v_cmp_ne_u32_e64 s2, v19, v31
	v_add_nc_u32_e32 v26, 0xfffffc10, v28
	s_or_b32 s0, s1, s0
	s_wait_dscnt 0x0
	v_lshrrev_b32_e32 v27, 16, v10
	s_wait_alu 0xfffe
	v_add_co_ci_u32_e64 v20, s0, 0, v20, s0
	v_cndmask_b32_e64 v19, 0, 1, s2
	v_cmp_ne_u32_e64 s0, 0, v12
	v_mul_f16_e32 v28, v111, v27
	v_lshl_or_b32 v25, v4, 16, v25
	s_delay_alu instid0(VALU_DEP_4)
	v_or_b32_e32 v19, v21, v19
	v_lshl_or_b32 v21, v26, 12, v23
	s_wait_alu 0xf1ff
	v_cndmask_b32_e64 v12, 0, 1, s0
	v_cmp_gt_i32_e64 s0, 1, v26
	v_fmac_f16_e32 v28, v108, v10
	v_mul_f16_e32 v10, v111, v10
	v_and_or_b32 v2, 0x1ff, v3, v2
	v_mul_f64_e32 v[14:15], s[10:11], v[14:15]
	s_wait_alu 0xf1ff
	v_cndmask_b32_e64 v21, v21, v19, s0
	v_cmp_gt_i32_e64 s0, 31, v22
	v_lshl_or_b32 v12, v12, 9, 0x7c00
	v_cmp_ne_u32_e64 s1, 0, v2
	v_fma_f16 v10, v108, v27, -v10
	v_and_b32_e32 v29, 7, v21
	s_wait_alu 0xf1ff
	v_cndmask_b32_e64 v19, 0x7c00, v20, s0
	v_cvt_f32_f16_e32 v20, v28
	v_cmp_eq_u32_e64 s0, 0x40f, v22
	v_cndmask_b32_e64 v2, 0, 1, s1
	v_cmp_eq_u32_e64 s1, 3, v29
	v_lshrrev_b32_e32 v22, 8, v3
	v_bfe_u32 v28, v3, 20, 11
	s_wait_alu 0xf1ff
	v_cndmask_b32_e64 v12, v19, v12, s0
	v_cvt_f64_f32_e32 v[19:20], v20
	v_cmp_lt_i32_e64 s0, 5, v29
	v_lshrrev_b32_e32 v21, 2, v21
	v_and_or_b32 v2, 0xffe, v22, v2
	v_sub_nc_u32_e32 v22, 0x3f1, v28
	v_and_or_b32 v12, 0x8000, v13, v12
	s_or_b32 s0, s1, s0
	v_add_nc_u32_e32 v28, 0xfffffc10, v28
	s_wait_alu 0xfffe
	v_add_co_ci_u32_e64 v21, s0, 0, v21, s0
	v_cmp_ne_u32_e64 s0, 0, v23
	v_or_b32_e32 v29, 0x1000, v2
	v_med3_i32 v22, v22, 0, 13
	v_cvt_f32_f16_e32 v10, v10
	v_lshrrev_b32_e32 v3, 16, v3
	s_wait_alu 0xf1ff
	v_cndmask_b32_e64 v23, 0, 1, s0
	v_cmp_gt_i32_e64 s0, 31, v26
	v_lshrrev_b32_e32 v30, v22, v29
	s_delay_alu instid0(VALU_DEP_3) | instskip(SKIP_1) | instid1(VALU_DEP_3)
	v_lshl_or_b32 v23, v23, 9, 0x7c00
	s_wait_alu 0xf1ff
	v_cndmask_b32_e64 v21, 0x7c00, v21, s0
	v_cmp_eq_u32_e64 s0, 0x40f, v26
	v_lshlrev_b32_e32 v22, v22, v30
	v_and_or_b32 v14, 0x1ff, v15, v14
	v_and_b32_e32 v26, 0xffff, v12
	v_bfe_u32 v27, v15, 20, 11
	s_wait_alu 0xf1ff
	v_cndmask_b32_e64 v13, v21, v23, s0
	v_add_co_u32 v4, s0, v8, s6
	v_lshrrev_b32_e32 v21, 16, v5
	s_wait_alu 0xf1ff
	v_add_co_ci_u32_e64 v5, s0, s7, v9, s0
	v_cmp_ne_u32_e64 s0, v22, v29
	v_lshl_or_b32 v29, v28, 12, v2
	v_and_or_b32 v23, 0x8000, v21, v13
	s_wait_alu 0xf1ff
	s_delay_alu instid0(VALU_DEP_3)
	v_cndmask_b32_e64 v22, 0, 1, s0
	v_cmp_ne_u32_e64 s0, 0, v14
	v_mul_f64_e32 v[12:13], s[10:11], v[19:20]
	v_lshrrev_b32_e32 v20, 8, v15
	ds_load_2addr_b32 v[18:19], v18 offset0:156 offset1:212
	v_or_b32_e32 v22, v30, v22
	s_wait_alu 0xf1ff
	v_cndmask_b32_e64 v14, 0, 1, s0
	v_sub_nc_u32_e32 v30, 0x3f1, v27
	v_cmp_gt_i32_e64 s0, 1, v28
	global_store_b32 v[8:9], v24, off
	global_store_b32 v[4:5], v25, off
	v_lshl_or_b32 v24, v23, 16, v26
	v_and_or_b32 v14, 0xffe, v20, v14
	v_cvt_f64_f32_e32 v[20:21], v10
	s_wait_alu 0xf1ff
	v_cndmask_b32_e64 v10, v29, v22, s0
	v_med3_i32 v29, v30, 0, 13
	v_add_co_u32 v4, s0, v4, s8
	v_or_b32_e32 v22, 0x1000, v14
	s_delay_alu instid0(VALU_DEP_4)
	v_and_b32_e32 v8, 7, v10
	s_wait_alu 0xf1ff
	v_add_co_ci_u32_e64 v5, s0, s9, v5, s0
	v_add_nc_u32_e32 v26, 0xfffffc10, v27
	v_lshrrev_b32_e32 v9, v29, v22
	v_cmp_lt_i32_e64 s0, 5, v8
	v_cmp_eq_u32_e64 s1, 3, v8
	s_wait_dscnt 0x0
	v_lshrrev_b32_e32 v25, 16, v18
	v_lshrrev_b32_e32 v8, 2, v10
	v_lshlrev_b32_e32 v23, v29, v9
	v_lshrrev_b32_e32 v15, 16, v15
	s_or_b32 s0, s1, s0
	s_delay_alu instid0(VALU_DEP_2)
	v_cmp_ne_u32_e64 s2, v23, v22
	v_mul_f16_e32 v22, v109, v25
	s_wait_alu 0xfffe
	v_add_co_ci_u32_e64 v23, s0, 0, v8, s0
	v_cmp_ne_u32_e64 s0, 0, v2
	s_wait_alu 0xf1ff
	v_cndmask_b32_e64 v10, 0, 1, s2
	v_fmac_f16_e32 v22, v107, v18
	v_mul_f16_e32 v18, v109, v18
	v_lshrrev_b32_e32 v27, 8, v13
	v_cndmask_b32_e64 v2, 0, 1, s0
	v_or_b32_e32 v8, v9, v10
	v_lshl_or_b32 v9, v26, 12, v14
	v_and_or_b32 v10, 0x1ff, v13, v12
	v_cmp_gt_i32_e64 s0, 1, v26
	v_cvt_f32_f16_e32 v22, v22
	v_bfe_u32 v29, v13, 20, 11
	v_fma_f16 v18, v107, v25, -v18
	v_lshl_or_b32 v2, v2, 9, 0x7c00
	s_wait_alu 0xf1ff
	v_cndmask_b32_e64 v12, v9, v8, s0
	v_cmp_ne_u32_e64 s0, 0, v10
	v_mul_f64_e32 v[8:9], s[10:11], v[20:21]
	v_cvt_f64_f32_e32 v[20:21], v22
	v_cmp_eq_u32_e64 s2, 0x40f, v28
	v_cvt_f32_f16_e32 v18, v18
	s_wait_alu 0xf1ff
	v_cndmask_b32_e64 v10, 0, 1, s0
	v_cmp_gt_i32_e64 s0, 31, v28
	v_lshrrev_b32_e32 v13, 16, v13
	s_delay_alu instid0(VALU_DEP_3) | instskip(SKIP_1) | instid1(VALU_DEP_3)
	v_and_or_b32 v10, 0xffe, v27, v10
	s_wait_alu 0xf1ff
	v_cndmask_b32_e64 v22, 0x7c00, v23, s0
	v_and_b32_e32 v23, 7, v12
	v_sub_nc_u32_e32 v27, 0x3f1, v29
	v_lshrrev_b32_e32 v12, 2, v12
	v_or_b32_e32 v30, 0x1000, v10
	v_cndmask_b32_e64 v2, v22, v2, s2
	v_cmp_lt_i32_e64 s0, 5, v23
	v_cmp_eq_u32_e64 s1, 3, v23
	v_med3_i32 v27, v27, 0, 13
	v_cvt_f64_f32_e32 v[22:23], v18
	v_and_or_b32 v28, 0x8000, v3, v2
	s_delay_alu instid0(VALU_DEP_4) | instskip(NEXT) | instid1(VALU_DEP_3)
	s_or_b32 s0, s1, s0
	v_lshrrev_b32_e32 v25, v27, v30
	s_wait_alu 0xfffe
	v_add_co_ci_u32_e64 v12, s0, 0, v12, s0
	v_cmp_ne_u32_e64 s0, 0, v14
	s_delay_alu instid0(VALU_DEP_3) | instskip(SKIP_2) | instid1(VALU_DEP_3)
	v_lshlrev_b32_e32 v18, v27, v25
	v_add_nc_u32_e32 v27, 0xfffffc10, v29
	s_wait_alu 0xf1ff
	v_cndmask_b32_e64 v14, 0, 1, s0
	v_cmp_gt_i32_e64 s0, 31, v26
	s_delay_alu instid0(VALU_DEP_2) | instskip(SKIP_1) | instid1(VALU_DEP_2)
	v_lshl_or_b32 v14, v14, 9, 0x7c00
	s_wait_alu 0xf1ff
	v_cndmask_b32_e64 v12, 0x7c00, v12, s0
	v_cmp_ne_u32_e64 s0, v18, v30
	v_mul_f64_e32 v[2:3], s[10:11], v[20:21]
	v_and_or_b32 v8, 0x1ff, v9, v8
	v_lshrrev_b32_e32 v30, 16, v11
	s_wait_alu 0xf1ff
	v_cndmask_b32_e64 v18, 0, 1, s0
	v_cmp_eq_u32_e64 s0, 0x40f, v26
	s_wait_alu 0xf1ff
	s_delay_alu instid0(VALU_DEP_1) | instskip(NEXT) | instid1(VALU_DEP_3)
	v_cndmask_b32_e64 v12, v12, v14, s0
	v_or_b32_e32 v14, v25, v18
	v_lshl_or_b32 v18, v27, 12, v10
	v_cmp_gt_i32_e64 s0, 1, v27
	v_bfe_u32 v25, v9, 20, 11
	v_and_or_b32 v12, 0x8000, v15, v12
	v_and_b32_e32 v15, 0xffff, v28
	s_wait_alu 0xf1ff
	v_cndmask_b32_e64 v14, v18, v14, s0
	v_cmp_ne_u32_e64 s0, 0, v8
	v_lshrrev_b32_e32 v18, 8, v9
	v_lshl_or_b32 v12, v12, 16, v15
	v_lshrrev_b32_e32 v9, 16, v9
	v_and_b32_e32 v20, 7, v14
	s_wait_alu 0xf1ff
	v_cndmask_b32_e64 v8, 0, 1, s0
	v_lshrrev_b32_e32 v14, 2, v14
	s_delay_alu instid0(VALU_DEP_3) | instskip(SKIP_1) | instid1(VALU_DEP_4)
	v_cmp_lt_i32_e64 s0, 5, v20
	v_cmp_eq_u32_e64 s1, 3, v20
	v_and_or_b32 v8, 0xffe, v18, v8
	v_sub_nc_u32_e32 v18, 0x3f1, v25
	v_add_nc_u32_e32 v25, 0xfffffc10, v25
	s_delay_alu instid0(VALU_DEP_4) | instskip(NEXT) | instid1(VALU_DEP_3)
	s_or_b32 s0, s1, s0
	v_or_b32_e32 v26, 0x1000, v8
	s_delay_alu instid0(VALU_DEP_3)
	v_med3_i32 v18, v18, 0, 13
	s_wait_alu 0xfffe
	v_add_co_ci_u32_e64 v28, s0, 0, v14, s0
	v_mul_f64_e32 v[14:15], s[10:11], v[22:23]
	v_mul_f16_e32 v22, v106, v30
	v_add_co_u32 v20, s0, v4, s6
	s_wait_alu 0xf1ff
	v_add_co_ci_u32_e64 v21, s0, s7, v5, s0
	v_lshrrev_b32_e32 v29, v18, v26
	v_cmp_gt_i32_e64 s0, 31, v27
	v_fmac_f16_e32 v22, v104, v11
	v_and_or_b32 v2, 0x1ff, v3, v2
	v_bfe_u32 v31, v3, 20, 11
	v_lshlrev_b32_e32 v18, v18, v29
	s_wait_alu 0xf1ff
	v_cndmask_b32_e64 v28, 0x7c00, v28, s0
	v_cmp_ne_u32_e64 s0, 0, v10
	v_cvt_f32_f16_e32 v22, v22
	global_store_b32 v[4:5], v24, off
	global_store_b32 v[20:21], v12, off
	v_mul_f16_e32 v11, v106, v11
	s_wait_alu 0xf1ff
	v_cndmask_b32_e64 v10, 0, 1, s0
	v_cmp_ne_u32_e64 s0, v18, v26
	v_cvt_f64_f32_e32 v[22:23], v22
	v_lshl_or_b32 v26, v25, 12, v8
	v_fma_f16 v11, v104, v30, -v11
	v_lshl_or_b32 v10, v10, 9, 0x7c00
	s_wait_alu 0xf1ff
	v_cndmask_b32_e64 v18, 0, 1, s0
	v_cmp_ne_u32_e64 s0, 0, v2
	s_delay_alu instid0(VALU_DEP_2) | instskip(SKIP_1) | instid1(VALU_DEP_2)
	v_or_b32_e32 v18, v29, v18
	s_wait_alu 0xf1ff
	v_cndmask_b32_e64 v2, 0, 1, s0
	v_lshrrev_b32_e32 v29, 8, v3
	v_cmp_gt_i32_e64 s0, 1, v25
	v_lshrrev_b32_e32 v3, 16, v3
	s_delay_alu instid0(VALU_DEP_3) | instskip(SKIP_1) | instid1(VALU_DEP_3)
	v_and_or_b32 v2, 0xffe, v29, v2
	s_wait_alu 0xf1ff
	v_cndmask_b32_e64 v18, v26, v18, s0
	v_sub_nc_u32_e32 v26, 0x3f1, v31
	v_cmp_eq_u32_e64 s0, 0x40f, v27
	v_and_or_b32 v4, 0x1ff, v15, v14
	v_or_b32_e32 v27, 0x1000, v2
	v_lshrrev_b32_e32 v5, 2, v18
	v_med3_i32 v26, v26, 0, 13
	s_wait_alu 0xf1ff
	v_cndmask_b32_e64 v10, v28, v10, s0
	v_and_b32_e32 v28, 7, v18
	v_cmp_ne_u32_e64 s2, 0, v4
	v_lshrrev_b32_e32 v14, 8, v15
	v_bfe_u32 v18, v15, 20, 11
	v_and_or_b32 v12, 0x8000, v13, v10
	v_lshrrev_b32_e32 v13, v26, v27
	v_cmp_lt_i32_e64 s0, 5, v28
	v_cmp_eq_u32_e64 s1, 3, v28
	s_wait_alu 0xf1ff
	v_cndmask_b32_e64 v4, 0, 1, s2
	v_add_nc_u32_e32 v28, 0xfffffc10, v31
	v_lshlrev_b32_e32 v10, v26, v13
	v_sub_nc_u32_e32 v26, 0x3f1, v18
	s_or_b32 s0, s1, s0
	v_and_or_b32 v14, 0xffe, v14, v4
	s_wait_alu 0xfffe
	v_add_co_ci_u32_e64 v24, s0, 0, v5, s0
	v_cmp_ne_u32_e64 s0, v10, v27
	v_cvt_f32_f16_e32 v4, v11
	v_mul_f64_e32 v[10:11], s[10:11], v[22:23]
	v_or_b32_e32 v29, 0x1000, v14
	v_med3_i32 v26, v26, 0, 13
	s_wait_alu 0xf1ff
	v_cndmask_b32_e64 v27, 0, 1, s0
	v_cmp_ne_u32_e64 s0, 0, v8
	v_cvt_f64_f32_e32 v[4:5], v4
	v_lshl_or_b32 v22, v28, 12, v2
	v_lshrrev_b32_e32 v23, v26, v29
	v_or_b32_e32 v13, v13, v27
	s_wait_alu 0xf1ff
	v_cndmask_b32_e64 v8, 0, 1, s0
	v_cmp_gt_i32_e64 s0, 31, v25
	v_add_nc_u32_e32 v18, 0xfffffc10, v18
	s_delay_alu instid0(VALU_DEP_3) | instskip(SKIP_1) | instid1(VALU_DEP_3)
	v_lshl_or_b32 v8, v8, 9, 0x7c00
	s_wait_alu 0xf1ff
	v_cndmask_b32_e64 v24, 0x7c00, v24, s0
	v_cmp_gt_i32_e64 s0, 1, v28
	v_cmp_gt_i32_e64 s2, 1, v18
	s_wait_alu 0xf1ff
	s_delay_alu instid0(VALU_DEP_2) | instskip(SKIP_3) | instid1(VALU_DEP_1)
	v_cndmask_b32_e64 v13, v22, v13, s0
	v_lshlrev_b32_e32 v22, v26, v23
	v_cmp_eq_u32_e64 s0, 0x40f, v25
	s_wait_alu 0xf1ff
	v_cndmask_b32_e64 v8, v24, v8, s0
	s_delay_alu instid0(VALU_DEP_3) | instskip(SKIP_1) | instid1(VALU_DEP_3)
	v_cmp_ne_u32_e64 s0, v22, v29
	v_and_b32_e32 v24, 7, v13
	v_and_or_b32 v8, 0x8000, v9, v8
	s_wait_alu 0xf1ff
	s_delay_alu instid0(VALU_DEP_3)
	v_cndmask_b32_e64 v22, 0, 1, s0
	v_and_b32_e32 v9, 0xffff, v12
	v_cmp_lt_i32_e64 s0, 5, v24
	v_cmp_eq_u32_e64 s1, 3, v24
	v_and_or_b32 v10, 0x1ff, v11, v10
	v_or_b32_e32 v12, v23, v22
	v_lshl_or_b32 v23, v8, 16, v9
	v_lshrrev_b32_e32 v8, 2, v13
	v_lshl_or_b32 v22, v18, 12, v14
	s_or_b32 s0, s1, s0
	v_mul_f64_e32 v[4:5], s[10:11], v[4:5]
	v_cmp_ne_u32_e64 s1, 0, v10
	s_wait_alu 0xfffe
	v_add_co_ci_u32_e64 v8, s0, 0, v8, s0
	v_cndmask_b32_e64 v9, v22, v12, s2
	v_cmp_ne_u32_e64 s0, 0, v2
	v_lshrrev_b32_e32 v12, 16, v19
	v_lshrrev_b32_e32 v10, 8, v11
	v_bfe_u32 v25, v11, 20, 11
	v_and_b32_e32 v13, 7, v9
	s_wait_alu 0xf1ff
	v_cndmask_b32_e64 v2, 0, 1, s0
	v_cmp_gt_i32_e64 s0, 31, v28
	v_mul_f16_e32 v22, v105, v12
	v_lshrrev_b32_e32 v11, 16, v11
	s_delay_alu instid0(VALU_DEP_4)
	v_lshl_or_b32 v2, v2, 9, 0x7c00
	s_wait_alu 0xf1ff
	v_cndmask_b32_e64 v24, 0x7c00, v8, s0
	v_cmp_lt_i32_e64 s0, 5, v13
	v_cndmask_b32_e64 v8, 0, 1, s1
	v_cmp_eq_u32_e64 s1, 3, v13
	v_lshrrev_b32_e32 v13, 2, v9
	v_fmac_f16_e32 v22, v103, v19
	s_delay_alu instid0(VALU_DEP_4) | instskip(NEXT) | instid1(VALU_DEP_4)
	v_and_or_b32 v10, 0xffe, v10, v8
	s_or_b32 s0, s1, s0
	s_wait_alu 0xfffe
	v_add_co_ci_u32_e64 v13, s0, 0, v13, s0
	v_cvt_f32_f16_e32 v22, v22
	v_cmp_ne_u32_e64 s0, 0, v14
	v_or_b32_e32 v26, 0x1000, v10
	s_delay_alu instid0(VALU_DEP_3)
	v_cvt_f64_f32_e32 v[8:9], v22
	v_sub_nc_u32_e32 v22, 0x3f1, v25
	s_wait_alu 0xf1ff
	v_cndmask_b32_e64 v14, 0, 1, s0
	v_cmp_gt_i32_e64 s0, 31, v18
	v_add_nc_u32_e32 v25, 0xfffffc10, v25
	v_med3_i32 v22, v22, 0, 13
	s_delay_alu instid0(VALU_DEP_4) | instskip(SKIP_4) | instid1(VALU_DEP_1)
	v_lshl_or_b32 v14, v14, 9, 0x7c00
	s_wait_alu 0xf1ff
	v_cndmask_b32_e64 v13, 0x7c00, v13, s0
	v_cmp_eq_u32_e64 s0, 0x40f, v28
	s_wait_alu 0xf1ff
	v_cndmask_b32_e64 v2, v24, v2, s0
	v_lshrrev_b32_e32 v24, v22, v26
	v_cmp_eq_u32_e64 s0, 0x40f, v18
	s_delay_alu instid0(VALU_DEP_3) | instskip(SKIP_2) | instid1(VALU_DEP_3)
	v_and_or_b32 v18, 0x8000, v3, v2
	v_mul_f16_e32 v2, v105, v19
	s_wait_alu 0xf1ff
	v_cndmask_b32_e64 v13, v13, v14, s0
	v_lshrrev_b32_e32 v14, 16, v15
	v_lshlrev_b32_e32 v15, v22, v24
	v_and_or_b32 v3, 0x1ff, v5, v4
	v_fma_f16 v2, v103, v12, -v2
	v_lshrrev_b32_e32 v12, 8, v5
	v_and_or_b32 v4, 0x8000, v14, v13
	v_cmp_ne_u32_e64 s0, v15, v26
	v_bfe_u32 v22, v5, 20, 11
	v_cvt_f32_f16_e32 v2, v2
	v_lshl_or_b32 v15, v25, 12, v10
	v_and_b32_e32 v18, 0xffff, v18
	s_wait_alu 0xf1ff
	v_cndmask_b32_e64 v13, 0, 1, s0
	v_cmp_ne_u32_e64 s0, 0, v3
	s_delay_alu instid0(VALU_DEP_3) | instskip(NEXT) | instid1(VALU_DEP_3)
	v_lshl_or_b32 v29, v4, 16, v18
	v_or_b32_e32 v14, v24, v13
	s_wait_alu 0xf1ff
	s_delay_alu instid0(VALU_DEP_3) | instskip(SKIP_2) | instid1(VALU_DEP_3)
	v_cndmask_b32_e64 v3, 0, 1, s0
	v_mul_f64_e32 v[8:9], s[10:11], v[8:9]
	v_cmp_gt_i32_e64 s0, 1, v25
	v_and_or_b32 v24, 0xffe, v12, v3
	v_sub_nc_u32_e32 v12, 0x3f1, v22
	v_cvt_f64_f32_e32 v[2:3], v2
	s_wait_alu 0xf1ff
	v_cndmask_b32_e64 v27, v15, v14, s0
	v_add_co_u32 v14, s0, v20, s8
	v_med3_i32 v19, v12, 0, 13
	ds_load_2addr_b32 v[12:13], v17 offset0:80 offset1:136
	v_or_b32_e32 v26, 0x1000, v24
	s_wait_alu 0xf1ff
	v_add_co_ci_u32_e64 v15, s0, s9, v21, s0
	v_and_b32_e32 v4, 7, v27
	v_add_co_u32 v18, s0, v14, s6
	v_lshrrev_b32_e32 v28, v19, v26
	v_add_nc_u32_e32 v22, 0xfffffc10, v22
	s_delay_alu instid0(VALU_DEP_4) | instskip(NEXT) | instid1(VALU_DEP_3)
	v_cmp_eq_u32_e64 s1, 3, v4
	v_lshlrev_b32_e32 v20, v19, v28
	s_wait_alu 0xf1ff
	v_add_co_ci_u32_e64 v19, s0, s7, v15, s0
	v_cmp_lt_i32_e64 s0, 5, v4
	v_lshrrev_b32_e32 v4, 2, v27
	v_cmp_ne_u32_e64 s2, v20, v26
	v_lshl_or_b32 v21, v22, 12, v24
	s_wait_dscnt 0x0
	v_lshrrev_b32_e32 v26, 16, v12
	s_or_b32 s0, s1, s0
	v_cndmask_b32_e64 v20, 0, 1, s2
	s_wait_alu 0xfffe
	v_add_co_ci_u32_e64 v4, s0, 0, v4, s0
	v_mul_f16_e32 v27, v32, v26
	v_cmp_gt_i32_e64 s0, 31, v25
	v_or_b32_e32 v20, v28, v20
	v_and_or_b32 v8, 0x1ff, v9, v8
	v_cmp_eq_u32_e64 s2, 0x40f, v25
	v_fmac_f16_e32 v27, v100, v12
	s_wait_alu 0xf1ff
	v_cndmask_b32_e64 v4, 0x7c00, v4, s0
	v_cmp_gt_i32_e64 s0, 1, v22
	v_mul_f64_e32 v[2:3], s[10:11], v[2:3]
	v_lshrrev_b32_e32 v30, 8, v9
	v_bfe_u32 v31, v9, 20, 11
	s_wait_alu 0xf1ff
	v_cndmask_b32_e64 v28, v21, v20, s0
	v_cmp_ne_u32_e64 s0, 0, v10
	v_cvt_f32_f16_e32 v20, v27
	s_delay_alu instid0(VALU_DEP_3) | instskip(SKIP_1) | instid1(VALU_DEP_3)
	v_and_b32_e32 v27, 7, v28
	s_wait_alu 0xf1ff
	v_cndmask_b32_e64 v10, 0, 1, s0
	s_delay_alu instid0(VALU_DEP_3) | instskip(SKIP_2) | instid1(VALU_DEP_4)
	v_cvt_f64_f32_e32 v[20:21], v20
	v_cmp_ne_u32_e64 s0, 0, v8
	v_cmp_eq_u32_e64 s1, 3, v27
	v_lshl_or_b32 v10, v10, 9, 0x7c00
	s_wait_alu 0xf1ff
	s_delay_alu instid0(VALU_DEP_3)
	v_cndmask_b32_e64 v8, 0, 1, s0
	v_cmp_lt_i32_e64 s0, 5, v27
	v_sub_nc_u32_e32 v27, 0x3f1, v31
	v_cndmask_b32_e64 v4, v4, v10, s2
	v_lshrrev_b32_e32 v10, 2, v28
	v_and_or_b32 v8, 0xffe, v30, v8
	s_or_b32 s0, s1, s0
	v_med3_i32 v27, v27, 0, 13
	v_and_or_b32 v30, 0x8000, v11, v4
	s_wait_alu 0xfffe
	v_add_co_ci_u32_e64 v10, s0, 0, v10, s0
	v_or_b32_e32 v25, 0x1000, v8
	v_cmp_ne_u32_e64 s0, 0, v24
	v_mul_f16_e32 v4, v32, v12
	s_delay_alu instid0(VALU_DEP_3) | instskip(SKIP_1) | instid1(VALU_DEP_3)
	v_lshrrev_b32_e32 v28, v27, v25
	s_wait_alu 0xf1ff
	v_cndmask_b32_e64 v24, 0, 1, s0
	v_cmp_gt_i32_e64 s0, 31, v22
	v_fma_f16 v4, v100, v26, -v4
	v_lshlrev_b32_e32 v11, v27, v28
	s_delay_alu instid0(VALU_DEP_4)
	v_lshl_or_b32 v24, v24, 9, 0x7c00
	s_wait_alu 0xf1ff
	v_cndmask_b32_e64 v10, 0x7c00, v10, s0
	v_cmp_eq_u32_e64 s0, 0x40f, v22
	v_and_or_b32 v2, 0x1ff, v3, v2
	v_cvt_f32_f16_e32 v26, v4
	v_lshrrev_b32_e32 v22, 16, v5
	v_lshrrev_b32_e32 v27, 8, v3
	s_wait_alu 0xf1ff
	v_cndmask_b32_e64 v12, v10, v24, s0
	v_cmp_ne_u32_e64 s0, v11, v25
	v_add_nc_u32_e32 v25, 0xfffffc10, v31
	v_mul_f64_e32 v[10:11], s[10:11], v[20:21]
	v_cvt_f64_f32_e32 v[20:21], v26
	v_bfe_u32 v26, v3, 20, 11
	s_wait_alu 0xf1ff
	v_cndmask_b32_e64 v24, 0, 1, s0
	v_cmp_ne_u32_e64 s0, 0, v2
	ds_load_2addr_b32 v[4:5], v16 offset0:12 offset1:68
	v_and_or_b32 v12, 0x8000, v22, v12
	global_store_b32 v[14:15], v23, off
	global_store_b32 v[18:19], v29, off
	v_or_b32_e32 v22, v28, v24
	s_wait_alu 0xf1ff
	v_cndmask_b32_e64 v2, 0, 1, s0
	v_lshl_or_b32 v24, v25, 12, v8
	v_cmp_gt_i32_e64 s0, 1, v25
	v_and_b32_e32 v28, 0xffff, v30
	v_lshrrev_b32_e32 v31, 16, v99
	v_and_or_b32 v2, 0xffe, v27, v2
	v_sub_nc_u32_e32 v27, 0x3f1, v26
	s_wait_alu 0xf1ff
	v_cndmask_b32_e64 v22, v24, v22, s0
	v_lshl_or_b32 v12, v12, 16, v28
	v_add_co_u32 v14, s0, v18, s8
	v_or_b32_e32 v24, 0x1000, v2
	v_med3_i32 v27, v27, 0, 13
	v_and_b32_e32 v23, 7, v22
	s_wait_alu 0xf1ff
	v_add_co_ci_u32_e64 v15, s0, s9, v19, s0
	s_wait_dscnt 0x0
	v_lshrrev_b32_e32 v29, 16, v4
	v_lshrrev_b32_e32 v28, v27, v24
	v_cmp_lt_i32_e64 s0, 5, v23
	v_cmp_eq_u32_e64 s1, 3, v23
	v_lshrrev_b32_e32 v22, 2, v22
	v_mul_f16_e32 v19, v31, v29
	v_lshlrev_b32_e32 v18, v27, v28
	v_add_nc_u32_e32 v23, 0xfffffc10, v26
	s_or_b32 s0, s1, s0
	v_lshrrev_b32_e32 v3, 16, v3
	v_fmac_f16_e32 v19, v99, v4
	v_cmp_ne_u32_e64 s2, v18, v24
	s_wait_alu 0xfffe
	v_add_co_ci_u32_e64 v22, s0, 0, v22, s0
	v_lshl_or_b32 v26, v23, 12, v2
	v_and_or_b32 v10, 0x1ff, v11, v10
	s_wait_alu 0xf1ff
	v_cndmask_b32_e64 v18, 0, 1, s2
	v_cmp_gt_i32_e64 s0, 1, v23
	v_cvt_f32_f16_e32 v27, v19
	v_cmp_eq_u32_e64 s2, 0x40f, v25
	v_mul_f16_e32 v4, v31, v4
	v_or_b32_e32 v24, v28, v18
	v_mul_f64_e32 v[18:19], s[10:11], v[20:21]
	v_cvt_f64_f32_e32 v[20:21], v27
	v_bfe_u32 v27, v11, 20, 11
	v_fma_f16 v4, v99, v29, -v4
	s_wait_alu 0xf1ff
	v_cndmask_b32_e64 v24, v26, v24, s0
	v_cmp_ne_u32_e64 s0, 0, v10
	v_lshrrev_b32_e32 v26, 8, v11
	global_store_b32 v[14:15], v12, off
	v_cvt_f32_f16_e32 v4, v4
	v_and_b32_e32 v28, 7, v24
	s_wait_alu 0xf1ff
	v_cndmask_b32_e64 v10, 0, 1, s0
	v_cmp_ne_u32_e64 s0, 0, v8
	v_lshrrev_b32_e32 v24, 2, v24
	v_lshrrev_b32_e32 v11, 16, v11
	v_cmp_eq_u32_e64 s1, 3, v28
	v_and_or_b32 v10, 0xffe, v26, v10
	s_wait_alu 0xf1ff
	v_cndmask_b32_e64 v8, 0, 1, s0
	v_sub_nc_u32_e32 v26, 0x3f1, v27
	v_cmp_gt_i32_e64 s0, 31, v25
	v_or_b32_e32 v30, 0x1000, v10
	s_delay_alu instid0(VALU_DEP_4) | instskip(NEXT) | instid1(VALU_DEP_4)
	v_lshl_or_b32 v8, v8, 9, 0x7c00
	v_med3_i32 v26, v26, 0, 13
	s_wait_alu 0xf1ff
	v_cndmask_b32_e64 v22, 0x7c00, v22, s0
	v_cmp_lt_i32_e64 s0, 5, v28
	s_delay_alu instid0(VALU_DEP_2) | instskip(SKIP_1) | instid1(VALU_DEP_3)
	v_cndmask_b32_e64 v22, v22, v8, s2
	v_lshrrev_b32_e32 v8, v26, v30
	s_or_b32 s0, s1, s0
	s_wait_alu 0xfffe
	v_add_co_ci_u32_e64 v24, s0, 0, v24, s0
	s_delay_alu instid0(VALU_DEP_2)
	v_lshlrev_b32_e32 v25, v26, v8
	v_cmp_gt_i32_e64 s0, 31, v23
	v_lshrrev_b32_e32 v26, 16, v9
	v_and_or_b32 v18, 0x1ff, v19, v18
	v_bfe_u32 v29, v19, 20, 11
	s_wait_alu 0xf1ff
	v_cndmask_b32_e64 v24, 0x7c00, v24, s0
	v_cmp_ne_u32_e64 s0, v25, v30
	v_add_nc_u32_e32 v25, 0xfffffc10, v27
	v_and_or_b32 v12, 0x8000, v26, v22
	v_lshrrev_b32_e32 v30, 16, v96
	s_wait_alu 0xf1ff
	v_cndmask_b32_e64 v9, 0, 1, s0
	v_cmp_ne_u32_e64 s0, 0, v2
	v_lshl_or_b32 v28, v25, 12, v10
	v_cmp_eq_u32_e64 s2, 0x40f, v25
	v_and_b32_e32 v12, 0xffff, v12
	v_or_b32_e32 v27, v8, v9
	s_wait_alu 0xf1ff
	v_cndmask_b32_e64 v2, 0, 1, s0
	v_cmp_ne_u32_e64 s0, 0, v18
	v_mul_f64_e32 v[8:9], s[10:11], v[20:21]
	v_cvt_f64_f32_e32 v[20:21], v4
	v_lshrrev_b32_e32 v18, 8, v19
	v_lshl_or_b32 v2, v2, 9, 0x7c00
	s_wait_alu 0xf1ff
	v_cndmask_b32_e64 v4, 0, 1, s0
	v_cmp_gt_i32_e64 s0, 1, v25
	s_delay_alu instid0(VALU_DEP_2) | instskip(SKIP_1) | instid1(VALU_DEP_2)
	v_and_or_b32 v4, 0xffe, v18, v4
	s_wait_alu 0xf1ff
	v_cndmask_b32_e64 v27, v28, v27, s0
	v_sub_nc_u32_e32 v18, 0x3f1, v29
	v_cmp_eq_u32_e64 s0, 0x40f, v23
	s_delay_alu instid0(VALU_DEP_3) | instskip(NEXT) | instid1(VALU_DEP_3)
	v_and_b32_e32 v23, 7, v27
	v_med3_i32 v18, v18, 0, 13
	s_wait_alu 0xf1ff
	s_delay_alu instid0(VALU_DEP_3) | instskip(SKIP_3) | instid1(VALU_DEP_4)
	v_cndmask_b32_e64 v2, v24, v2, s0
	v_or_b32_e32 v24, 0x1000, v4
	v_cmp_lt_i32_e64 s0, 5, v23
	v_cmp_eq_u32_e64 s1, 3, v23
	v_and_or_b32 v22, 0x8000, v3, v2
	s_delay_alu instid0(VALU_DEP_4)
	v_lshrrev_b32_e32 v2, v18, v24
	v_lshrrev_b32_e32 v3, 2, v27
	;; [unrolled: 1-line block ×3, first 2 shown]
	s_or_b32 s0, s1, s0
	v_lshl_or_b32 v22, v22, 16, v12
	v_lshlrev_b32_e32 v18, v18, v2
	s_wait_alu 0xfffe
	v_add_co_ci_u32_e64 v26, s0, 0, v3, s0
	v_mul_f16_e32 v27, v30, v23
	s_delay_alu instid0(VALU_DEP_3) | instskip(SKIP_1) | instid1(VALU_DEP_3)
	v_cmp_ne_u32_e64 s0, v18, v24
	v_add_nc_u32_e32 v18, 0xfffffc10, v29
	v_fmac_f16_e32 v27, v96, v13
	s_wait_alu 0xf1ff
	s_delay_alu instid0(VALU_DEP_3) | instskip(SKIP_3) | instid1(VALU_DEP_4)
	v_cndmask_b32_e64 v3, 0, 1, s0
	v_cmp_ne_u32_e64 s0, 0, v10
	v_lshl_or_b32 v28, v18, 12, v4
	v_and_or_b32 v8, 0x1ff, v9, v8
	v_or_b32_e32 v24, v2, v3
	s_wait_alu 0xf1ff
	v_cndmask_b32_e64 v10, 0, 1, s0
	v_cmp_gt_i32_e64 s0, 1, v18
	v_mul_f64_e32 v[2:3], s[10:11], v[20:21]
	v_cvt_f32_f16_e32 v20, v27
	v_lshrrev_b32_e32 v27, 8, v9
	v_lshl_or_b32 v10, v10, 9, 0x7c00
	s_wait_alu 0xf1ff
	v_cndmask_b32_e64 v24, v28, v24, s0
	v_cmp_ne_u32_e64 s0, 0, v8
	v_cvt_f64_f32_e32 v[20:21], v20
	v_bfe_u32 v28, v9, 20, 11
	s_delay_alu instid0(VALU_DEP_4)
	v_and_b32_e32 v29, 7, v24
	s_wait_alu 0xf1ff
	v_cndmask_b32_e64 v8, 0, 1, s0
	v_cmp_gt_i32_e64 s0, 31, v25
	v_lshrrev_b32_e32 v24, 2, v24
	v_cmp_eq_u32_e64 s1, 3, v29
	s_delay_alu instid0(VALU_DEP_4)
	v_and_or_b32 v8, 0xffe, v27, v8
	v_sub_nc_u32_e32 v27, 0x3f1, v28
	s_wait_alu 0xf1ff
	v_cndmask_b32_e64 v26, 0x7c00, v26, s0
	v_cmp_lt_i32_e64 s0, 5, v29
	v_or_b32_e32 v29, 0x1000, v8
	v_med3_i32 v27, v27, 0, 13
	s_delay_alu instid0(VALU_DEP_4) | instskip(NEXT) | instid1(VALU_DEP_4)
	v_cndmask_b32_e64 v10, v26, v10, s2
	s_or_b32 s0, s1, s0
	s_wait_alu 0xfffe
	v_add_co_ci_u32_e64 v24, s0, 0, v24, s0
	v_lshrrev_b32_e32 v25, v27, v29
	v_cmp_gt_i32_e64 s0, 31, v18
	v_and_or_b32 v26, 0x8000, v11, v10
	v_mul_f16_e32 v11, v30, v13
	s_delay_alu instid0(VALU_DEP_4)
	v_lshlrev_b32_e32 v10, v27, v25
	s_wait_alu 0xf1ff
	v_cndmask_b32_e64 v24, 0x7c00, v24, s0
	v_cmp_ne_u32_e64 s0, 0, v4
	v_add_nc_u32_e32 v27, 0xfffffc10, v28
	v_fma_f16 v23, v96, v23, -v11
	v_lshrrev_b32_e32 v28, 16, v95
	v_and_or_b32 v2, 0x1ff, v3, v2
	s_wait_alu 0xf1ff
	v_cndmask_b32_e64 v4, 0, 1, s0
	v_cmp_ne_u32_e64 s0, v10, v29
	v_lshl_or_b32 v13, v27, 12, v8
	s_delay_alu instid0(VALU_DEP_3) | instskip(SKIP_1) | instid1(VALU_DEP_3)
	v_lshl_or_b32 v4, v4, 9, 0x7c00
	s_wait_alu 0xf1ff
	v_cndmask_b32_e64 v10, 0, 1, s0
	v_cmp_ne_u32_e64 s0, 0, v2
	s_delay_alu instid0(VALU_DEP_2) | instskip(SKIP_2) | instid1(VALU_DEP_3)
	v_or_b32_e32 v12, v25, v10
	v_mul_f64_e32 v[10:11], s[10:11], v[20:21]
	s_wait_alu 0xf1ff
	v_cndmask_b32_e64 v2, 0, 1, s0
	v_cvt_f32_f16_e32 v21, v23
	v_cmp_gt_i32_e64 s0, 1, v27
	v_lshrrev_b32_e32 v20, 8, v3
	v_bfe_u32 v23, v3, 20, 11
	s_wait_alu 0xf1ff
	s_delay_alu instid0(VALU_DEP_3)
	v_cndmask_b32_e64 v25, v13, v12, s0
	v_cvt_f64_f32_e32 v[12:13], v21
	v_cmp_eq_u32_e64 s0, 0x40f, v18
	v_and_or_b32 v2, 0xffe, v20, v2
	v_sub_nc_u32_e32 v20, 0x3f1, v23
	v_lshrrev_b32_e32 v18, 16, v19
	v_and_b32_e32 v19, 7, v25
	s_wait_alu 0xf1ff
	v_cndmask_b32_e64 v4, v24, v4, s0
	v_add_co_u32 v14, s0, v14, s6
	v_or_b32_e32 v21, 0x1000, v2
	v_med3_i32 v20, v20, 0, 13
	s_wait_alu 0xf1ff
	v_add_co_ci_u32_e64 v15, s0, s7, v15, s0
	v_cmp_lt_i32_e64 s0, 5, v19
	v_cmp_eq_u32_e64 s1, 3, v19
	v_lshrrev_b32_e32 v19, 2, v25
	v_and_or_b32 v4, 0x8000, v18, v4
	v_and_b32_e32 v18, 0xffff, v26
	v_lshrrev_b32_e32 v24, v20, v21
	s_or_b32 s0, s1, s0
	global_store_b32 v[14:15], v22, off
	s_wait_alu 0xfffe
	v_add_co_ci_u32_e64 v19, s0, 0, v19, s0
	v_lshl_or_b32 v18, v4, 16, v18
	v_lshlrev_b32_e32 v4, v20, v24
	v_cmp_ne_u32_e64 s0, 0, v8
	v_add_nc_u32_e32 v20, 0xfffffc10, v23
	v_lshrrev_b32_e32 v22, 16, v5
	v_lshrrev_b32_e32 v26, 16, v9
	v_and_or_b32 v10, 0x1ff, v11, v10
	s_wait_alu 0xf1ff
	v_cndmask_b32_e64 v8, 0, 1, s0
	v_cmp_ne_u32_e64 s0, v4, v21
	v_lshl_or_b32 v21, v20, 12, v2
	v_lshrrev_b32_e32 v23, 8, v11
	v_mul_f16_e32 v25, v28, v22
	v_lshl_or_b32 v8, v8, 9, 0x7c00
	s_wait_alu 0xf1ff
	v_cndmask_b32_e64 v4, 0, 1, s0
	v_cmp_gt_i32_e64 s0, 31, v27
	v_mul_f64_e32 v[12:13], s[10:11], v[12:13]
	v_fmac_f16_e32 v25, v95, v5
	v_mul_f16_e32 v5, v28, v5
	v_or_b32_e32 v4, v24, v4
	s_wait_alu 0xf1ff
	v_cndmask_b32_e64 v19, 0x7c00, v19, s0
	v_cmp_ne_u32_e64 s0, 0, v10
	v_bfe_u32 v24, v11, 20, 11
	v_cvt_f32_f16_e32 v25, v25
	v_fma_f16 v5, v95, v22, -v5
	v_add_co_u32 v14, s2, v14, s8
	s_wait_alu 0xf1ff
	v_cndmask_b32_e64 v10, 0, 1, s0
	v_cmp_gt_i32_e64 s0, 1, v20
	v_cvt_f32_f16_e32 v5, v5
	v_add_co_ci_u32_e64 v15, s2, s9, v15, s2
	s_delay_alu instid0(VALU_DEP_4)
	v_and_or_b32 v10, 0xffe, v23, v10
	s_wait_alu 0xf1ff
	v_cndmask_b32_e64 v4, v21, v4, s0
	v_cmp_eq_u32_e64 s0, 0x40f, v27
	v_sub_nc_u32_e32 v21, 0x3f1, v24
	global_store_b32 v[14:15], v18, off
	v_or_b32_e32 v23, 0x1000, v10
	s_wait_alu 0xf1ff
	v_cndmask_b32_e64 v19, v19, v8, s0
	v_and_b32_e32 v8, 7, v4
	v_med3_i32 v21, v21, 0, 13
	v_lshrrev_b32_e32 v4, 2, v4
	s_delay_alu instid0(VALU_DEP_4) | instskip(NEXT) | instid1(VALU_DEP_4)
	v_and_or_b32 v19, 0x8000, v26, v19
	v_cmp_lt_i32_e64 s0, 5, v8
	v_cmp_eq_u32_e64 s1, 3, v8
	v_lshrrev_b32_e32 v27, v21, v23
	v_cvt_f64_f32_e32 v[8:9], v25
	v_and_b32_e32 v19, 0xffff, v19
	s_delay_alu instid0(VALU_DEP_4) | instskip(NEXT) | instid1(VALU_DEP_3)
	s_or_b32 s0, s1, s0
	v_lshlrev_b32_e32 v21, v21, v27
	s_wait_alu 0xfffe
	v_add_co_ci_u32_e64 v4, s0, 0, v4, s0
	v_cmp_ne_u32_e64 s0, 0, v2
	v_bfe_u32 v25, v13, 20, 11
	s_wait_alu 0xf1ff
	s_delay_alu instid0(VALU_DEP_2) | instskip(SKIP_1) | instid1(VALU_DEP_2)
	v_cndmask_b32_e64 v2, 0, 1, s0
	v_cmp_ne_u32_e64 s0, v21, v23
	v_lshl_or_b32 v2, v2, 9, 0x7c00
	s_wait_alu 0xf1ff
	s_delay_alu instid0(VALU_DEP_2) | instskip(SKIP_2) | instid1(VALU_DEP_1)
	v_cndmask_b32_e64 v21, 0, 1, s0
	v_cmp_gt_i32_e64 s0, 31, v20
	s_wait_alu 0xf1ff
	v_cndmask_b32_e64 v22, 0x7c00, v4, s0
	v_and_or_b32 v4, 0x1ff, v13, v12
	v_or_b32_e32 v12, v27, v21
	v_add_nc_u32_e32 v21, 0xfffffc10, v24
	v_lshrrev_b32_e32 v24, 8, v13
	v_lshrrev_b32_e32 v13, 16, v13
	v_cmp_ne_u32_e64 s0, 0, v4
	v_cvt_f64_f32_e32 v[4:5], v5
	v_lshl_or_b32 v26, v21, 12, v10
	s_wait_alu 0xf1ff
	s_delay_alu instid0(VALU_DEP_3) | instskip(SKIP_2) | instid1(VALU_DEP_1)
	v_cndmask_b32_e64 v23, 0, 1, s0
	v_cmp_eq_u32_e64 s0, 0x40f, v20
	s_wait_alu 0xf1ff
	v_cndmask_b32_e64 v20, v22, v2, s0
	v_cmp_gt_i32_e64 s0, 1, v21
	v_and_or_b32 v22, 0xffe, v24, v23
	v_sub_nc_u32_e32 v2, 0x3f1, v25
	v_lshrrev_b32_e32 v23, 16, v3
	s_wait_alu 0xf1ff
	v_cndmask_b32_e64 v12, v26, v12, s0
	v_or_b32_e32 v24, 0x1000, v22
	v_med3_i32 v26, v2, 0, 13
	v_mul_f64_e32 v[2:3], s[10:11], v[8:9]
	ds_load_2addr_b32 v[8:9], v17 offset0:192 offset1:248
	v_and_b32_e32 v27, 7, v12
	v_lshrrev_b32_e32 v12, 2, v12
	v_lshrrev_b32_e32 v17, v26, v24
	v_and_or_b32 v20, 0x8000, v23, v20
	s_delay_alu instid0(VALU_DEP_4) | instskip(SKIP_1) | instid1(VALU_DEP_4)
	v_cmp_lt_i32_e64 s0, 5, v27
	v_cmp_eq_u32_e64 s1, 3, v27
	v_lshlrev_b32_e32 v18, v26, v17
	s_delay_alu instid0(VALU_DEP_4)
	v_lshl_or_b32 v19, v20, 16, v19
	v_add_nc_u32_e32 v20, 0xfffffc10, v25
	v_lshrrev_b32_e32 v25, 16, v92
	s_or_b32 s0, s1, s0
	v_lshrrev_b32_e32 v27, 16, v88
	s_wait_alu 0xfffe
	v_add_co_ci_u32_e64 v12, s0, 0, v12, s0
	v_cmp_ne_u32_e64 s0, v18, v24
	v_mul_f64_e32 v[4:5], s[10:11], v[4:5]
	s_wait_dscnt 0x0
	v_lshrrev_b32_e32 v23, 16, v8
	s_wait_alu 0xf1ff
	v_cndmask_b32_e64 v18, 0, 1, s0
	v_cmp_ne_u32_e64 s0, 0, v10
	s_delay_alu instid0(VALU_DEP_2) | instskip(SKIP_1) | instid1(VALU_DEP_2)
	v_or_b32_e32 v17, v17, v18
	s_wait_alu 0xf1ff
	v_cndmask_b32_e64 v10, 0, 1, s0
	v_cmp_gt_i32_e64 s0, 31, v21
	v_lshl_or_b32 v18, v20, 12, v22
	s_delay_alu instid0(VALU_DEP_3) | instskip(SKIP_1) | instid1(VALU_DEP_3)
	v_lshl_or_b32 v10, v10, 9, 0x7c00
	s_wait_alu 0xf1ff
	v_cndmask_b32_e64 v12, 0x7c00, v12, s0
	v_cmp_gt_i32_e64 s0, 1, v20
	v_and_or_b32 v2, 0x1ff, v3, v2
	s_wait_alu 0xf1ff
	s_delay_alu instid0(VALU_DEP_2) | instskip(SKIP_4) | instid1(VALU_DEP_3)
	v_cndmask_b32_e64 v17, v18, v17, s0
	v_mul_f16_e32 v18, v25, v23
	v_add_co_u32 v14, s0, v14, s6
	s_wait_alu 0xf1ff
	v_add_co_ci_u32_e64 v15, s0, s7, v15, s0
	v_fmac_f16_e32 v18, v92, v8
	v_cmp_eq_u32_e64 s0, 0x40f, v21
	v_and_b32_e32 v24, 7, v17
	v_lshrrev_b32_e32 v21, 16, v11
	v_cmp_ne_u32_e64 s2, 0, v2
	v_lshrrev_b32_e32 v17, 2, v17
	s_wait_alu 0xf1ff
	v_cndmask_b32_e64 v12, v12, v10, s0
	v_cvt_f32_f16_e32 v10, v18
	v_cmp_lt_i32_e64 s0, 5, v24
	v_cmp_eq_u32_e64 s1, 3, v24
	v_cndmask_b32_e64 v2, 0, 1, s2
	v_lshrrev_b32_e32 v18, 8, v3
	v_cvt_f64_f32_e32 v[10:11], v10
	v_and_or_b32 v12, 0x8000, v21, v12
	v_bfe_u32 v21, v3, 20, 11
	s_or_b32 s0, s1, s0
	v_and_or_b32 v2, 0xffe, v18, v2
	s_wait_alu 0xfffe
	v_add_co_ci_u32_e64 v17, s0, 0, v17, s0
	v_sub_nc_u32_e32 v18, 0x3f1, v21
	v_cmp_ne_u32_e64 s0, 0, v22
	v_mul_f16_e32 v8, v25, v8
	v_or_b32_e32 v24, 0x1000, v2
	v_and_or_b32 v4, 0x1ff, v5, v4
	v_med3_i32 v18, v18, 0, 13
	s_wait_alu 0xf1ff
	v_cndmask_b32_e64 v22, 0, 1, s0
	v_cmp_gt_i32_e64 s0, 31, v20
	v_fma_f16 v8, v92, v23, -v8
	v_lshrrev_b32_e32 v25, 8, v5
	v_lshrrev_b32_e32 v23, v18, v24
	v_lshl_or_b32 v22, v22, 9, 0x7c00
	s_wait_alu 0xf1ff
	v_cndmask_b32_e64 v17, 0x7c00, v17, s0
	v_cmp_eq_u32_e64 s0, 0x40f, v20
	v_cvt_f32_f16_e32 v8, v8
	v_add_nc_u32_e32 v21, 0xfffffc10, v21
	v_and_b32_e32 v26, 0xffff, v12
	global_store_b32 v[14:15], v19, off
	s_wait_alu 0xf1ff
	v_cndmask_b32_e64 v20, v17, v22, s0
	v_lshlrev_b32_e32 v22, v18, v23
	v_cmp_ne_u32_e64 s0, 0, v4
	v_cvt_f64_f32_e32 v[17:18], v8
	v_bfe_u32 v8, v5, 20, 11
	v_and_or_b32 v20, 0x8000, v13, v20
	ds_load_2addr_b32 v[12:13], v16 offset0:124 offset1:180
	s_wait_alu 0xf1ff
	v_cndmask_b32_e64 v4, 0, 1, s0
	v_cmp_ne_u32_e64 s0, v22, v24
	v_sub_nc_u32_e32 v24, 0x3f1, v8
	v_lshl_or_b32 v19, v20, 16, v26
	v_add_nc_u32_e32 v8, 0xfffffc10, v8
	v_and_or_b32 v4, 0xffe, v25, v4
	s_wait_alu 0xf1ff
	v_cndmask_b32_e64 v22, 0, 1, s0
	v_mul_f64_e32 v[10:11], s[10:11], v[10:11]
	v_cmp_gt_i32_e64 s0, 1, v21
	v_med3_i32 v24, v24, 0, 13
	v_or_b32_e32 v25, 0x1000, v4
	v_or_b32_e32 v22, v23, v22
	v_lshl_or_b32 v23, v21, 12, v2
	v_lshrrev_b32_e32 v26, 16, v91
	v_lshrrev_b32_e32 v5, 16, v5
	s_wait_alu 0xf1ff
	s_delay_alu instid0(VALU_DEP_3)
	v_cndmask_b32_e64 v22, v23, v22, s0
	v_lshrrev_b32_e32 v23, v24, v25
	v_add_co_u32 v14, s0, v14, s8
	s_wait_alu 0xf1ff
	v_add_co_ci_u32_e64 v15, s0, s9, v15, s0
	v_and_b32_e32 v16, 7, v22
	v_lshlrev_b32_e32 v20, v24, v23
	global_store_b32 v[14:15], v19, off
	v_cmp_lt_i32_e64 s0, 5, v16
	v_cmp_eq_u32_e64 s1, 3, v16
	v_lshrrev_b32_e32 v16, 2, v22
	v_cmp_ne_u32_e64 s2, v20, v25
	s_delay_alu instid0(VALU_DEP_3) | instskip(SKIP_1) | instid1(VALU_DEP_2)
	s_or_b32 s0, s1, s0
	s_wait_alu 0xfffe
	v_add_co_ci_u32_e64 v22, s0, 0, v16, s0
	s_delay_alu instid0(VALU_DEP_2)
	v_cndmask_b32_e64 v20, 0, 1, s2
	v_cmp_ne_u32_e64 s0, 0, v2
	v_mul_f64_e32 v[16:17], s[10:11], v[17:18]
	s_wait_dscnt 0x0
	v_lshrrev_b32_e32 v18, 16, v12
	v_or_b32_e32 v20, v23, v20
	v_lshl_or_b32 v23, v8, 12, v4
	s_wait_alu 0xf1ff
	v_cndmask_b32_e64 v2, 0, 1, s0
	v_cmp_gt_i32_e64 s0, 1, v8
	v_and_or_b32 v10, 0x1ff, v11, v10
	v_bfe_u32 v25, v11, 20, 11
	s_delay_alu instid0(VALU_DEP_4)
	v_lshl_or_b32 v2, v2, 9, 0x7c00
	s_wait_alu 0xf1ff
	v_cndmask_b32_e64 v20, v23, v20, s0
	v_mul_f16_e32 v23, v26, v18
	v_cmp_gt_i32_e64 s0, 31, v21
	v_cmp_ne_u32_e64 s1, 0, v10
	s_delay_alu instid0(VALU_DEP_4) | instskip(NEXT) | instid1(VALU_DEP_4)
	v_and_b32_e32 v24, 7, v20
	v_fmac_f16_e32 v23, v91, v12
	s_wait_alu 0xf1ff
	v_cndmask_b32_e64 v22, 0x7c00, v22, s0
	v_cmp_eq_u32_e64 s0, 0x40f, v21
	v_cndmask_b32_e64 v10, 0, 1, s1
	v_cmp_eq_u32_e64 s1, 3, v24
	v_lshrrev_b32_e32 v20, 2, v20
	v_mul_f16_e32 v12, v26, v12
	s_wait_alu 0xf1ff
	v_cndmask_b32_e64 v21, v22, v2, s0
	v_cvt_f32_f16_e32 v2, v23
	v_cmp_lt_i32_e64 s0, 5, v24
	v_lshrrev_b32_e32 v22, 16, v3
	v_lshrrev_b32_e32 v23, 8, v11
	v_fma_f16 v12, v91, v18, -v12
	v_cvt_f64_f32_e32 v[2:3], v2
	s_or_b32 s0, s1, s0
	v_and_or_b32 v21, 0x8000, v22, v21
	s_wait_alu 0xfffe
	v_add_co_ci_u32_e64 v20, s0, 0, v20, s0
	v_and_or_b32 v10, 0xffe, v23, v10
	v_sub_nc_u32_e32 v23, 0x3f1, v25
	v_cmp_ne_u32_e64 s0, 0, v4
	v_and_or_b32 v16, 0x1ff, v17, v16
	v_lshrrev_b32_e32 v11, 16, v11
	v_or_b32_e32 v24, 0x1000, v10
	v_med3_i32 v23, v23, 0, 13
	s_wait_alu 0xf1ff
	v_cndmask_b32_e64 v4, 0, 1, s0
	v_cmp_gt_i32_e64 s0, 31, v8
	s_delay_alu instid0(VALU_DEP_3) | instskip(NEXT) | instid1(VALU_DEP_3)
	v_lshrrev_b32_e32 v22, v23, v24
	v_lshl_or_b32 v4, v4, 9, 0x7c00
	s_wait_alu 0xf1ff
	s_delay_alu instid0(VALU_DEP_3) | instskip(SKIP_4) | instid1(VALU_DEP_3)
	v_cndmask_b32_e64 v20, 0x7c00, v20, s0
	v_cmp_eq_u32_e64 s0, 0x40f, v8
	v_lshlrev_b32_e32 v8, v23, v22
	v_bfe_u32 v23, v17, 20, 11
	s_wait_alu 0xf1ff
	v_cndmask_b32_e64 v4, v20, v4, s0
	v_cmp_ne_u32_e64 s0, 0, v16
	v_lshrrev_b32_e32 v20, 8, v17
	v_lshrrev_b32_e32 v17, 16, v17
	s_delay_alu instid0(VALU_DEP_4)
	v_and_or_b32 v18, 0x8000, v5, v4
	s_wait_alu 0xf1ff
	v_cndmask_b32_e64 v16, 0, 1, s0
	v_cmp_ne_u32_e64 s0, v8, v24
	v_add_nc_u32_e32 v24, 0xfffffc10, v25
	v_cvt_f32_f16_e32 v4, v12
	v_and_b32_e32 v12, 0xffff, v21
	v_and_or_b32 v16, 0xffe, v20, v16
	s_wait_alu 0xf1ff
	v_cndmask_b32_e64 v8, 0, 1, s0
	v_sub_nc_u32_e32 v20, 0x3f1, v23
	v_cmp_gt_i32_e64 s0, 1, v24
	v_mul_f64_e32 v[2:3], s[10:11], v[2:3]
	v_or_b32_e32 v25, 0x1000, v16
	v_or_b32_e32 v8, v22, v8
	v_lshl_or_b32 v22, v24, 12, v10
	v_med3_i32 v20, v20, 0, 13
	v_cvt_f64_f32_e32 v[4:5], v4
	v_lshl_or_b32 v12, v18, 16, v12
	v_add_nc_u32_e32 v23, 0xfffffc10, v23
	s_wait_alu 0xf1ff
	v_cndmask_b32_e64 v8, v22, v8, s0
	v_lshrrev_b32_e32 v22, v20, v25
	s_delay_alu instid0(VALU_DEP_2) | instskip(NEXT) | instid1(VALU_DEP_2)
	v_and_b32_e32 v21, 7, v8
	v_lshlrev_b32_e32 v19, v20, v22
	v_lshrrev_b32_e32 v8, 2, v8
	s_delay_alu instid0(VALU_DEP_3) | instskip(SKIP_1) | instid1(VALU_DEP_4)
	v_cmp_lt_i32_e64 s0, 5, v21
	v_cmp_eq_u32_e64 s1, 3, v21
	v_cmp_ne_u32_e64 s2, v19, v25
	v_lshl_or_b32 v19, v23, 12, v16
	v_mad_co_u64_u32 v[20:21], null, s4, v87, 0
	s_delay_alu instid0(VALU_DEP_4) | instskip(NEXT) | instid1(VALU_DEP_3)
	s_or_b32 s0, s1, s0
	v_cndmask_b32_e64 v18, 0, 1, s2
	s_wait_alu 0xfffe
	v_add_co_ci_u32_e64 v8, s0, 0, v8, s0
	v_cmp_ne_u32_e64 s0, 0, v10
	v_add_co_u32 v14, s2, v14, s6
	v_or_b32_e32 v18, v22, v18
	s_wait_alu 0xf1ff
	v_add_co_ci_u32_e64 v15, s2, s7, v15, s2
	v_cndmask_b32_e64 v10, 0, 1, s0
	v_cmp_gt_i32_e64 s0, 1, v23
	v_lshrrev_b32_e32 v22, 16, v9
	global_store_b32 v[14:15], v12, off
	v_and_or_b32 v2, 0x1ff, v3, v2
	v_lshl_or_b32 v10, v10, 9, 0x7c00
	s_wait_alu 0xf1ff
	v_cndmask_b32_e64 v18, v19, v18, s0
	v_cmp_gt_i32_e64 s0, 31, v24
	v_cmp_ne_u32_e64 s2, 0, v2
	v_mul_f64_e32 v[4:5], s[10:11], v[4:5]
	s_delay_alu instid0(VALU_DEP_4)
	v_and_b32_e32 v12, 7, v18
	s_wait_alu 0xf1ff
	v_cndmask_b32_e64 v8, 0x7c00, v8, s0
	v_cmp_eq_u32_e64 s0, 0x40f, v24
	v_cndmask_b32_e64 v2, 0, 1, s2
	v_bfe_u32 v24, v3, 20, 11
	v_cmp_eq_u32_e64 s1, 3, v12
	s_wait_alu 0xf1ff
	v_cndmask_b32_e64 v10, v8, v10, s0
	v_mul_f16_e32 v8, v27, v22
	v_cmp_lt_i32_e64 s0, 5, v12
	v_lshrrev_b32_e32 v12, 2, v18
	v_lshrrev_b32_e32 v18, 8, v3
	v_and_or_b32 v11, 0x8000, v11, v10
	v_fmac_f16_e32 v8, v88, v9
	s_or_b32 s0, s1, s0
	v_mul_f16_e32 v9, v27, v9
	s_wait_alu 0xfffe
	v_add_co_ci_u32_e64 v12, s0, 0, v12, s0
	v_cvt_f32_f16_e32 v8, v8
	v_and_or_b32 v25, 0xffe, v18, v2
	v_sub_nc_u32_e32 v2, 0x3f1, v24
	v_cmp_ne_u32_e64 s0, 0, v16
	v_lshrrev_b32_e32 v27, 16, v82
	v_cvt_f64_f32_e32 v[18:19], v8
	v_or_b32_e32 v16, 0x1000, v25
	v_med3_i32 v26, v2, 0, 13
	s_wait_alu 0xf1ff
	v_cndmask_b32_e64 v8, 0, 1, s0
	v_cmp_gt_i32_e64 s0, 31, v23
	s_delay_alu instid0(VALU_DEP_2) | instskip(SKIP_1) | instid1(VALU_DEP_2)
	v_lshl_or_b32 v8, v8, 9, 0x7c00
	s_wait_alu 0xf1ff
	v_cndmask_b32_e64 v2, 0x7c00, v12, s0
	v_lshrrev_b32_e32 v12, v26, v16
	v_cmp_eq_u32_e64 s0, 0x40f, v23
	v_and_or_b32 v4, 0x1ff, v5, v4
	s_wait_alu 0xf1ff
	s_delay_alu instid0(VALU_DEP_2)
	v_cndmask_b32_e64 v23, v2, v8, s0
	v_mov_b32_e32 v2, v21
	v_fma_f16 v21, v88, v22, -v9
	v_lshlrev_b32_e32 v22, v26, v12
	v_bfe_u32 v26, v5, 20, 11
	v_and_or_b32 v23, 0x8000, v17, v23
	v_mad_co_u64_u32 v[8:9], null, s5, v87, v[2:3]
	s_delay_alu instid0(VALU_DEP_4)
	v_cmp_ne_u32_e64 s0, v22, v16
	v_cvt_f32_f16_e32 v2, v21
	v_add_nc_u32_e32 v22, 0xfffffc10, v24
	v_lshrrev_b32_e32 v24, 8, v5
	s_wait_alu 0xf1ff
	v_cndmask_b32_e64 v16, 0, 1, s0
	v_cvt_f64_f32_e32 v[9:10], v2
	v_cmp_gt_i32_e64 s0, 1, v22
	v_dual_mov_b32 v21, v8 :: v_dual_and_b32 v8, 0xffff, v11
	s_delay_alu instid0(VALU_DEP_4) | instskip(SKIP_1) | instid1(VALU_DEP_3)
	v_or_b32_e32 v2, v12, v16
	v_lshl_or_b32 v12, v22, 12, v25
	v_lshlrev_b64_e32 v[16:17], 2, v[20:21]
	s_delay_alu instid0(VALU_DEP_4)
	v_lshl_or_b32 v8, v23, 16, v8
	v_lshrrev_b32_e32 v21, 16, v86
	s_wait_alu 0xf1ff
	v_cndmask_b32_e64 v2, v12, v2, s0
	v_cmp_ne_u32_e64 s0, 0, v4
	v_mul_f64_e32 v[11:12], s[10:11], v[18:19]
	v_sub_nc_u32_e32 v19, 0x3f1, v26
	s_delay_alu instid0(VALU_DEP_4)
	v_and_b32_e32 v18, 7, v2
	s_wait_alu 0xf1ff
	v_cndmask_b32_e64 v4, 0, 1, s0
	v_add_co_u32 v0, s0, v0, v16
	s_wait_alu 0xf1ff
	v_add_co_ci_u32_e64 v1, s0, v1, v17, s0
	s_delay_alu instid0(VALU_DEP_3)
	v_and_or_b32 v4, 0xffe, v24, v4
	v_cmp_lt_i32_e64 s0, 5, v18
	v_cmp_eq_u32_e64 s1, 3, v18
	v_lshrrev_b32_e32 v2, 2, v2
	v_med3_i32 v17, v19, 0, 13
	v_or_b32_e32 v16, 0x1000, v4
	global_store_b32 v[0:1], v8, off
	s_or_b32 s0, s1, s0
	s_wait_alu 0xfffe
	v_add_co_ci_u32_e64 v0, s0, 0, v2, s0
	v_lshrrev_b32_e32 v8, v17, v16
	v_cmp_ne_u32_e64 s0, 0, v25
	s_delay_alu instid0(VALU_DEP_2) | instskip(SKIP_1) | instid1(VALU_DEP_2)
	v_lshlrev_b32_e32 v17, v17, v8
	s_wait_alu 0xf1ff
	v_cndmask_b32_e64 v2, 0, 1, s0
	v_cmp_gt_i32_e64 s0, 31, v22
	s_delay_alu instid0(VALU_DEP_2) | instskip(SKIP_1) | instid1(VALU_DEP_2)
	v_lshl_or_b32 v2, v2, 9, 0x7c00
	s_wait_alu 0xf1ff
	v_cndmask_b32_e64 v18, 0x7c00, v0, s0
	v_mul_f64_e32 v[0:1], s[10:11], v[9:10]
	v_lshrrev_b32_e32 v9, 16, v13
	v_cmp_ne_u32_e64 s0, v17, v16
	v_add_nc_u32_e32 v16, 0xfffffc10, v26
	v_bfe_u32 v19, v12, 20, 11
	s_delay_alu instid0(VALU_DEP_4) | instskip(SKIP_3) | instid1(VALU_DEP_3)
	v_mul_f16_e32 v17, v21, v9
	s_wait_alu 0xf1ff
	v_cndmask_b32_e64 v10, 0, 1, s0
	v_cmp_eq_u32_e64 s0, 0x40f, v22
	v_fmac_f16_e32 v17, v86, v13
	v_mul_f16_e32 v13, v21, v13
	s_wait_alu 0xf1ff
	s_delay_alu instid0(VALU_DEP_3)
	v_cndmask_b32_e64 v18, v18, v2, s0
	v_or_b32_e32 v2, v8, v10
	v_lshl_or_b32 v8, v16, 12, v4
	v_cmp_gt_i32_e64 s0, 1, v16
	v_and_or_b32 v10, 0x1ff, v12, v11
	v_lshrrev_b32_e32 v11, 16, v3
	v_fma_f16 v9, v86, v9, -v13
	s_wait_alu 0xf1ff
	v_cndmask_b32_e64 v8, v8, v2, s0
	v_cvt_f32_f16_e32 v2, v17
	v_cmp_ne_u32_e64 s0, 0, v10
	v_lshrrev_b32_e32 v17, 8, v12
	v_and_or_b32 v18, 0x8000, v11, v18
	v_and_b32_e32 v20, 7, v8
	v_cvt_f64_f32_e32 v[2:3], v2
	s_wait_alu 0xf1ff
	v_cndmask_b32_e64 v10, 0, 1, s0
	v_lshrrev_b32_e32 v8, 2, v8
	v_and_b32_e32 v18, 0xffff, v18
	v_cmp_lt_i32_e64 s0, 5, v20
	v_cmp_eq_u32_e64 s1, 3, v20
	v_and_or_b32 v17, 0xffe, v17, v10
	v_sub_nc_u32_e32 v10, 0x3f1, v19
	v_add_nc_u32_e32 v19, 0xfffffc10, v19
	s_delay_alu instid0(VALU_DEP_4) | instskip(NEXT) | instid1(VALU_DEP_3)
	s_or_b32 s0, s1, s0
	v_or_b32_e32 v11, 0x1000, v17
	s_wait_alu 0xfffe
	v_add_co_ci_u32_e64 v8, s0, 0, v8, s0
	v_med3_i32 v10, v10, 0, 13
	v_cmp_ne_u32_e64 s0, 0, v4
	v_and_or_b32 v0, 0x1ff, v1, v0
	v_lshrrev_b32_e32 v21, 8, v1
	v_bfe_u32 v23, v1, 20, 11
	v_lshrrev_b32_e32 v20, v10, v11
	s_wait_alu 0xf1ff
	v_cndmask_b32_e64 v4, 0, 1, s0
	v_cmp_gt_i32_e64 s0, 31, v16
	s_delay_alu instid0(VALU_DEP_3) | instskip(NEXT) | instid1(VALU_DEP_3)
	v_lshlrev_b32_e32 v10, v10, v20
	v_lshl_or_b32 v4, v4, 9, 0x7c00
	s_wait_alu 0xf1ff
	s_delay_alu instid0(VALU_DEP_3) | instskip(SKIP_2) | instid1(VALU_DEP_2)
	v_cndmask_b32_e64 v13, 0x7c00, v8, s0
	v_cvt_f32_f16_e32 v8, v9
	v_cmp_ne_u32_e64 s0, 0, v0
	v_cvt_f64_f32_e32 v[8:9], v8
	s_wait_alu 0xf1ff
	s_delay_alu instid0(VALU_DEP_2) | instskip(SKIP_3) | instid1(VALU_DEP_4)
	v_cndmask_b32_e64 v0, 0, 1, s0
	v_cmp_ne_u32_e64 s0, v10, v11
	v_mad_co_u64_u32 v[10:11], null, 0xe0, s4, v[14:15]
	v_lshl_or_b32 v15, v19, 12, v17
	v_and_or_b32 v21, 0xffe, v21, v0
	s_wait_alu 0xf1ff
	v_cndmask_b32_e64 v22, 0, 1, s0
	v_sub_nc_u32_e32 v0, 0x3f1, v23
	v_cmp_eq_u32_e64 s0, 0x40f, v16
	v_mul_f64_e32 v[2:3], s[10:11], v[2:3]
	s_delay_alu instid0(VALU_DEP_4) | instskip(NEXT) | instid1(VALU_DEP_4)
	v_or_b32_e32 v14, v20, v22
	v_med3_i32 v22, v0, 0, 13
	s_wait_alu 0xf1ff
	v_cndmask_b32_e64 v0, v13, v4, s0
	v_cmp_gt_i32_e64 s0, 1, v19
	v_or_b32_e32 v20, 0x1000, v21
	v_lshrrev_b32_e32 v13, 16, v5
	ds_load_2addr_b32 v[4:5], v7 offset0:48 offset1:104
	s_wait_alu 0xf1ff
	v_cndmask_b32_e64 v15, v15, v14, s0
	v_lshrrev_b32_e32 v16, v22, v20
	v_and_or_b32 v24, 0x8000, v13, v0
	s_delay_alu instid0(VALU_DEP_3) | instskip(NEXT) | instid1(VALU_DEP_3)
	v_dual_mov_b32 v0, v11 :: v_dual_and_b32 v7, 7, v15
	v_lshlrev_b32_e32 v11, v22, v16
	v_lshrrev_b32_e32 v22, 16, v83
	s_delay_alu instid0(VALU_DEP_3) | instskip(NEXT) | instid1(VALU_DEP_4)
	v_mad_co_u64_u32 v[13:14], null, 0xe0, s5, v[0:1]
	v_cmp_lt_i32_e64 s0, 5, v7
	v_cmp_eq_u32_e64 s1, 3, v7
	v_lshrrev_b32_e32 v0, 2, v15
	v_cmp_ne_u32_e64 s2, v11, v20
	v_add_nc_u32_e32 v14, 0xfffffc10, v23
	v_lshl_or_b32 v18, v24, 16, v18
	s_or_b32 s0, s1, s0
	s_wait_alu 0xfffe
	v_add_co_ci_u32_e64 v0, s0, 0, v0, s0
	v_cndmask_b32_e64 v7, 0, 1, s2
	v_cmp_ne_u32_e64 s0, 0, v17
	v_lshl_or_b32 v15, v14, 12, v21
	s_delay_alu instid0(VALU_DEP_3)
	v_or_b32_e32 v11, v16, v7
	v_mul_f64_e32 v[7:8], s[10:11], v[8:9]
	s_wait_dscnt 0x0
	v_lshrrev_b32_e32 v9, 16, v4
	s_wait_alu 0xf1ff
	v_cndmask_b32_e64 v16, 0, 1, s0
	v_cmp_gt_i32_e64 s0, 1, v14
	v_and_or_b32 v2, 0x1ff, v3, v2
	v_bfe_u32 v20, v3, 20, 11
	s_delay_alu instid0(VALU_DEP_4)
	v_lshl_or_b32 v16, v16, 9, 0x7c00
	s_wait_alu 0xf1ff
	v_cndmask_b32_e64 v15, v15, v11, s0
	v_mul_f16_e32 v11, v22, v9
	v_cmp_gt_i32_e64 s0, 31, v19
	v_cmp_ne_u32_e64 s1, 0, v2
	s_delay_alu instid0(VALU_DEP_4) | instskip(NEXT) | instid1(VALU_DEP_4)
	v_and_b32_e32 v17, 7, v15
	v_fmac_f16_e32 v11, v83, v4
	s_wait_alu 0xf1ff
	v_cndmask_b32_e64 v0, 0x7c00, v0, s0
	v_cmp_eq_u32_e64 s0, 0x40f, v19
	v_cndmask_b32_e64 v2, 0, 1, s1
	v_cmp_eq_u32_e64 s1, 3, v17
	v_cvt_f32_f16_e32 v11, v11
	v_lshrrev_b32_e32 v19, 8, v3
	s_wait_alu 0xf1ff
	v_cndmask_b32_e64 v0, v0, v16, s0
	v_lshrrev_b32_e32 v16, 16, v12
	v_cmp_lt_i32_e64 s0, 5, v17
	v_cvt_f64_f32_e32 v[11:12], v11
	v_and_or_b32 v2, 0xffe, v19, v2
	v_mul_f16_e32 v4, v22, v4
	v_and_or_b32 v16, 0x8000, v16, v0
	v_lshrrev_b32_e32 v0, 2, v15
	s_or_b32 s0, s1, s0
	v_sub_nc_u32_e32 v15, 0x3f1, v20
	v_or_b32_e32 v19, 0x1000, v2
	v_fma_f16 v4, v83, v9, -v4
	s_wait_alu 0xfffe
	v_add_co_ci_u32_e64 v0, s0, 0, v0, s0
	v_cmp_ne_u32_e64 s0, 0, v21
	v_med3_i32 v15, v15, 0, 13
	v_and_b32_e32 v16, 0xffff, v16
	v_and_or_b32 v7, 0x1ff, v8, v7
	v_bfe_u32 v22, v8, 20, 11
	s_wait_alu 0xf1ff
	v_cndmask_b32_e64 v17, 0, 1, s0
	v_cmp_gt_i32_e64 s0, 31, v14
	v_lshrrev_b32_e32 v21, v15, v19
	v_lshrrev_b32_e32 v3, 16, v3
	s_delay_alu instid0(VALU_DEP_4)
	v_lshl_or_b32 v17, v17, 9, 0x7c00
	s_wait_alu 0xf1ff
	v_cndmask_b32_e64 v0, 0x7c00, v0, s0
	v_cmp_eq_u32_e64 s0, 0x40f, v14
	v_lshlrev_b32_e32 v14, v15, v21
	s_wait_alu 0xf1ff
	s_delay_alu instid0(VALU_DEP_2) | instskip(SKIP_4) | instid1(VALU_DEP_4)
	v_cndmask_b32_e64 v9, v0, v17, s0
	v_cvt_f32_f16_e32 v0, v4
	v_cmp_ne_u32_e64 s0, 0, v7
	v_lshrrev_b32_e32 v17, 16, v1
	v_lshrrev_b32_e32 v7, 8, v8
	v_cvt_f64_f32_e32 v[0:1], v0
	s_wait_alu 0xf1ff
	v_cndmask_b32_e64 v4, 0, 1, s0
	v_cmp_ne_u32_e64 s0, v14, v19
	v_add_nc_u32_e32 v19, 0xfffffc10, v20
	v_sub_nc_u32_e32 v20, 0x3f1, v22
	v_and_or_b32 v9, 0x8000, v17, v9
	v_and_or_b32 v4, 0xffe, v7, v4
	s_wait_alu 0xf1ff
	v_cndmask_b32_e64 v14, 0, 1, s0
	ds_load_2addr_b32 v[6:7], v6 offset0:108 offset1:164
	v_lshl_or_b32 v23, v19, 12, v2
	v_cmp_gt_i32_e64 s0, 1, v19
	v_med3_i32 v20, v20, 0, 13
	v_or_b32_e32 v21, v21, v14
	v_mul_f64_e32 v[14:15], s[10:11], v[11:12]
	v_or_b32_e32 v12, 0x1000, v4
	v_lshl_or_b32 v24, v9, 16, v16
	v_mov_b32_e32 v11, v13
	s_wait_alu 0xf1ff
	v_cndmask_b32_e64 v21, v23, v21, s0
	v_lshrrev_b32_e32 v17, v20, v12
	s_delay_alu instid0(VALU_DEP_2) | instskip(SKIP_1) | instid1(VALU_DEP_3)
	v_and_b32_e32 v23, 7, v21
	v_lshrrev_b32_e32 v13, 2, v21
	v_lshlrev_b32_e32 v9, v20, v17
	v_add_nc_u32_e32 v21, 0xfffffc10, v22
	s_delay_alu instid0(VALU_DEP_4)
	v_cmp_lt_i32_e64 s0, 5, v23
	v_cmp_eq_u32_e64 s1, 3, v23
	s_wait_dscnt 0x0
	v_lshrrev_b32_e32 v20, 16, v6
	v_cmp_ne_u32_e64 s2, v9, v12
	v_lshl_or_b32 v16, v21, 12, v4
	s_or_b32 s0, s1, s0
	s_delay_alu instid0(VALU_DEP_3)
	v_mul_f16_e32 v12, v27, v20
	s_wait_alu 0xfffe
	v_add_co_ci_u32_e64 v13, s0, 0, v13, s0
	v_cndmask_b32_e64 v9, 0, 1, s2
	v_cmp_ne_u32_e64 s0, 0, v2
	v_fmac_f16_e32 v12, v82, v6
	v_mul_f64_e32 v[0:1], s[10:11], v[0:1]
	v_mul_f16_e32 v6, v27, v6
	v_or_b32_e32 v9, v17, v9
	s_wait_alu 0xf1ff
	v_cndmask_b32_e64 v2, 0, 1, s0
	v_cmp_gt_i32_e64 s0, 1, v21
	v_cvt_f32_f16_e32 v12, v12
	v_fma_f16 v6, v82, v20, -v6
	s_delay_alu instid0(VALU_DEP_4)
	v_lshl_or_b32 v2, v2, 9, 0x7c00
	s_wait_alu 0xf1ff
	v_cndmask_b32_e64 v9, v16, v9, s0
	v_cmp_gt_i32_e64 s0, 31, v19
	v_and_or_b32 v14, 0x1ff, v15, v14
	v_cvt_f32_f16_e32 v6, v6
	s_delay_alu instid0(VALU_DEP_4)
	v_and_b32_e32 v23, 7, v9
	s_wait_alu 0xf1ff
	v_cndmask_b32_e64 v22, 0x7c00, v13, s0
	v_cvt_f64_f32_e32 v[12:13], v12
	v_add_co_u32 v16, s0, v10, s8
	s_wait_alu 0xf1ff
	v_add_co_ci_u32_e64 v17, s0, s9, v11, s0
	v_cmp_eq_u32_e64 s0, 0x40f, v19
	v_cmp_ne_u32_e64 s1, 0, v14
	v_lshrrev_b32_e32 v9, 2, v9
	v_lshrrev_b32_e32 v19, 8, v15
	global_store_b32 v[10:11], v18, off
	global_store_b32 v[16:17], v24, off
	s_wait_alu 0xf1ff
	v_cndmask_b32_e64 v2, v22, v2, s0
	v_cmp_lt_i32_e64 s0, 5, v23
	v_cndmask_b32_e64 v14, 0, 1, s1
	v_cmp_eq_u32_e64 s1, 3, v23
	v_bfe_u32 v22, v15, 20, 11
	v_and_or_b32 v25, 0x8000, v3, v2
	v_lshrrev_b32_e32 v24, 16, v79
	v_and_or_b32 v14, 0xffe, v19, v14
	s_or_b32 s0, s1, s0
	v_sub_nc_u32_e32 v19, 0x3f1, v22
	s_wait_alu 0xfffe
	v_add_co_ci_u32_e64 v9, s0, 0, v9, s0
	v_cmp_ne_u32_e64 s0, 0, v4
	v_or_b32_e32 v23, 0x1000, v14
	v_med3_i32 v19, v19, 0, 13
	v_and_or_b32 v0, 0x1ff, v1, v0
	v_add_nc_u32_e32 v20, 0xfffffc10, v22
	s_wait_alu 0xf1ff
	v_cndmask_b32_e64 v4, 0, 1, s0
	v_cmp_gt_i32_e64 s0, 31, v21
	v_lshrrev_b32_e32 v26, v19, v23
	v_lshrrev_b32_e32 v15, 16, v15
	v_lshl_or_b32 v22, v20, 12, v14
	v_lshl_or_b32 v4, v4, 9, 0x7c00
	s_wait_alu 0xf1ff
	v_cndmask_b32_e64 v9, 0x7c00, v9, s0
	v_cmp_eq_u32_e64 s0, 0x40f, v21
	v_lshrrev_b32_e32 v21, 16, v8
	v_lshlrev_b32_e32 v8, v19, v26
	v_bfe_u32 v19, v1, 20, 11
	v_mul_f64_e32 v[2:3], s[10:11], v[12:13]
	s_wait_alu 0xf1ff
	v_cndmask_b32_e64 v4, v9, v4, s0
	v_cmp_ne_u32_e64 s0, 0, v0
	v_lshrrev_b32_e32 v9, 8, v1
	v_sub_nc_u32_e32 v12, 0x3f1, v19
	v_cmp_eq_u32_e64 s2, 0x40f, v20
	v_and_or_b32 v4, 0x8000, v21, v4
	s_wait_alu 0xf1ff
	v_cndmask_b32_e64 v0, 0, 1, s0
	v_cmp_ne_u32_e64 s0, v8, v23
	v_lshrrev_b32_e32 v1, 16, v1
	s_delay_alu instid0(VALU_DEP_3) | instskip(SKIP_1) | instid1(VALU_DEP_3)
	v_and_or_b32 v0, 0xffe, v9, v0
	s_wait_alu 0xf1ff
	v_cndmask_b32_e64 v8, 0, 1, s0
	v_cmp_gt_i32_e64 s0, 1, v20
	s_delay_alu instid0(VALU_DEP_3) | instskip(NEXT) | instid1(VALU_DEP_3)
	v_or_b32_e32 v23, 0x1000, v0
	v_or_b32_e32 v13, v26, v8
	v_cvt_f64_f32_e32 v[8:9], v6
	v_med3_i32 v6, v12, 0, 13
	v_and_b32_e32 v12, 0xffff, v25
	s_wait_alu 0xf1ff
	v_cndmask_b32_e64 v13, v22, v13, s0
	v_add_co_u32 v10, s0, v16, s6
	v_lshrrev_b32_e32 v21, v6, v23
	v_lshl_or_b32 v18, v4, 16, v12
	s_delay_alu instid0(VALU_DEP_4)
	v_and_b32_e32 v4, 7, v13
	s_wait_alu 0xf1ff
	v_add_co_ci_u32_e64 v11, s0, s7, v17, s0
	v_lshlrev_b32_e32 v6, v6, v21
	v_lshrrev_b32_e32 v16, 16, v5
	v_cmp_lt_i32_e64 s0, 5, v4
	v_add_nc_u32_e32 v17, 0xfffffc10, v19
	s_delay_alu instid0(VALU_DEP_4) | instskip(NEXT) | instid1(VALU_DEP_4)
	v_cmp_ne_u32_e64 s1, v6, v23
	v_mul_f16_e32 v12, v24, v16
	v_and_or_b32 v2, 0x1ff, v3, v2
	v_lshrrev_b32_e32 v19, 8, v3
	s_wait_alu 0xf1ff
	v_cndmask_b32_e64 v6, 0, 1, s1
	v_cmp_eq_u32_e64 s1, 3, v4
	v_lshrrev_b32_e32 v4, 2, v13
	v_lshl_or_b32 v13, v17, 12, v0
	v_fmac_f16_e32 v12, v79, v5
	v_or_b32_e32 v6, v21, v6
	s_or_b32 s0, s1, s0
	v_bfe_u32 v21, v3, 20, 11
	s_wait_alu 0xfffe
	v_add_co_ci_u32_e64 v4, s0, 0, v4, s0
	v_cmp_gt_i32_e64 s0, 1, v17
	v_cvt_f32_f16_e32 v12, v12
	s_wait_alu 0xf1ff
	s_delay_alu instid0(VALU_DEP_2) | instskip(SKIP_1) | instid1(VALU_DEP_3)
	v_cndmask_b32_e64 v6, v13, v6, s0
	v_cmp_ne_u32_e64 s0, 0, v2
	v_cvt_f64_f32_e32 v[12:13], v12
	v_mul_f64_e32 v[8:9], s[10:11], v[8:9]
	s_delay_alu instid0(VALU_DEP_4)
	v_and_b32_e32 v22, 7, v6
	s_wait_alu 0xf1ff
	v_cndmask_b32_e64 v2, 0, 1, s0
	v_cmp_ne_u32_e64 s0, 0, v14
	v_lshrrev_b32_e32 v6, 2, v6
	v_cmp_eq_u32_e64 s1, 3, v22
	s_delay_alu instid0(VALU_DEP_4)
	v_and_or_b32 v2, 0xffe, v19, v2
	s_wait_alu 0xf1ff
	v_cndmask_b32_e64 v14, 0, 1, s0
	v_cmp_gt_i32_e64 s0, 31, v20
	v_sub_nc_u32_e32 v19, 0x3f1, v21
	v_add_nc_u32_e32 v20, 0xfffffc10, v21
	v_or_b32_e32 v23, 0x1000, v2
	v_lshl_or_b32 v14, v14, 9, 0x7c00
	s_wait_alu 0xf1ff
	v_cndmask_b32_e64 v4, 0x7c00, v4, s0
	v_cmp_lt_i32_e64 s0, 5, v22
	v_med3_i32 v19, v19, 0, 13
	s_delay_alu instid0(VALU_DEP_3) | instskip(NEXT) | instid1(VALU_DEP_3)
	v_cndmask_b32_e64 v4, v4, v14, s2
	s_or_b32 s0, s1, s0
	s_delay_alu instid0(VALU_DEP_2)
	v_lshrrev_b32_e32 v14, v19, v23
	s_wait_alu 0xfffe
	v_add_co_ci_u32_e64 v6, s0, 0, v6, s0
	v_cmp_ne_u32_e64 s0, 0, v0
	v_and_or_b32 v15, 0x8000, v15, v4
	v_lshlrev_b32_e32 v19, v19, v14
	s_wait_alu 0xf1ff
	s_delay_alu instid0(VALU_DEP_3) | instskip(SKIP_1) | instid1(VALU_DEP_2)
	v_cndmask_b32_e64 v0, 0, 1, s0
	v_cmp_gt_i32_e64 s0, 31, v17
	v_lshl_or_b32 v0, v0, 9, 0x7c00
	s_wait_alu 0xf1ff
	s_delay_alu instid0(VALU_DEP_2) | instskip(SKIP_4) | instid1(VALU_DEP_3)
	v_cndmask_b32_e64 v6, 0x7c00, v6, s0
	v_cmp_ne_u32_e64 s0, v19, v23
	v_and_or_b32 v8, 0x1ff, v9, v8
	v_lshrrev_b32_e32 v23, 16, v78
	s_wait_alu 0xf1ff
	v_cndmask_b32_e64 v19, 0, 1, s0
	v_cmp_eq_u32_e64 s0, 0x40f, v17
	s_wait_alu 0xf1ff
	s_delay_alu instid0(VALU_DEP_1) | instskip(NEXT) | instid1(VALU_DEP_3)
	v_cndmask_b32_e64 v0, v6, v0, s0
	v_or_b32_e32 v6, v14, v19
	v_mul_f16_e32 v14, v24, v5
	v_mul_f64_e32 v[4:5], s[10:11], v[12:13]
	v_lshl_or_b32 v12, v20, 12, v2
	v_cmp_gt_i32_e64 s0, 1, v20
	v_lshrrev_b32_e32 v19, 16, v7
	v_fma_f16 v13, v79, v16, -v14
	v_bfe_u32 v14, v9, 20, 11
	v_and_or_b32 v16, 0x8000, v1, v0
	s_wait_alu 0xf1ff
	v_cndmask_b32_e64 v6, v12, v6, s0
	v_cmp_ne_u32_e64 s0, 0, v8
	v_cvt_f32_f16_e32 v12, v13
	v_lshrrev_b32_e32 v13, 8, v9
	v_mul_f16_e32 v21, v23, v19
	v_and_b32_e32 v17, 7, v6
	s_wait_alu 0xf1ff
	v_cndmask_b32_e64 v8, 0, 1, s0
	v_cvt_f64_f32_e32 v[0:1], v12
	v_sub_nc_u32_e32 v12, 0x3f1, v14
	v_lshrrev_b32_e32 v6, 2, v6
	v_cmp_lt_i32_e64 s0, 5, v17
	v_and_or_b32 v8, 0xffe, v13, v8
	v_cmp_eq_u32_e64 s1, 3, v17
	v_and_b32_e32 v13, 0xffff, v15
	v_med3_i32 v12, v12, 0, 13
	v_fmac_f16_e32 v21, v78, v7
	v_or_b32_e32 v15, 0x1000, v8
	s_or_b32 s0, s1, s0
	v_lshl_or_b32 v16, v16, 16, v13
	s_wait_alu 0xfffe
	v_add_co_ci_u32_e64 v6, s0, 0, v6, s0
	v_lshrrev_b32_e32 v17, v12, v15
	v_cmp_ne_u32_e64 s0, 0, v2
	v_add_nc_u32_e32 v14, 0xfffffc10, v14
	v_mul_f16_e32 v7, v23, v7
	v_lshrrev_b32_e32 v9, 16, v9
	v_lshlrev_b32_e32 v22, v12, v17
	s_wait_alu 0xf1ff
	v_cndmask_b32_e64 v2, 0, 1, s0
	v_cvt_f32_f16_e32 v12, v21
	v_cmp_gt_i32_e64 s0, 31, v20
	v_fma_f16 v7, v78, v19, -v7
	v_and_or_b32 v4, 0x1ff, v5, v4
	v_lshl_or_b32 v19, v14, 12, v8
	v_cvt_f64_f32_e32 v[12:13], v12
	s_wait_alu 0xf1ff
	v_cndmask_b32_e64 v21, 0x7c00, v6, s0
	v_cmp_ne_u32_e64 s0, v22, v15
	v_lshrrev_b32_e32 v15, 8, v5
	v_cvt_f32_f16_e32 v7, v7
	v_lshl_or_b32 v2, v2, 9, 0x7c00
	s_wait_alu 0xf1ff
	v_cndmask_b32_e64 v6, 0, 1, s0
	v_cmp_ne_u32_e64 s0, 0, v4
	s_delay_alu instid0(VALU_DEP_2) | instskip(SKIP_1) | instid1(VALU_DEP_2)
	v_or_b32_e32 v6, v17, v6
	s_wait_alu 0xf1ff
	v_cndmask_b32_e64 v4, 0, 1, s0
	v_bfe_u32 v17, v5, 20, 11
	v_cmp_gt_i32_e64 s0, 1, v14
	v_mul_f64_e32 v[0:1], s[10:11], v[0:1]
	v_lshrrev_b32_e32 v5, 16, v5
	v_and_or_b32 v4, 0xffe, v15, v4
	v_sub_nc_u32_e32 v15, 0x3f1, v17
	s_wait_alu 0xf1ff
	v_cndmask_b32_e64 v19, v19, v6, s0
	v_cmp_eq_u32_e64 s0, 0x40f, v20
	v_cvt_f64_f32_e32 v[6:7], v7
	v_or_b32_e32 v22, 0x1000, v4
	v_med3_i32 v15, v15, 0, 13
	v_and_b32_e32 v23, 7, v19
	s_wait_alu 0xf1ff
	v_cndmask_b32_e64 v20, v21, v2, s0
	v_add_co_u32 v2, s0, v10, s8
	v_lshrrev_b32_e32 v24, v15, v22
	v_lshrrev_b32_e32 v21, 16, v3
	s_wait_alu 0xf1ff
	v_add_co_ci_u32_e64 v3, s0, s9, v11, s0
	v_cmp_lt_i32_e64 s0, 5, v23
	v_cmp_eq_u32_e64 s1, 3, v23
	v_lshrrev_b32_e32 v19, 2, v19
	v_lshlrev_b32_e32 v15, v15, v24
	v_add_nc_u32_e32 v17, 0xfffffc10, v17
	v_mul_f64_e32 v[12:13], s[10:11], v[12:13]
	s_or_b32 s0, s1, s0
	v_and_or_b32 v20, 0x8000, v21, v20
	s_wait_alu 0xfffe
	v_add_co_ci_u32_e64 v19, s0, 0, v19, s0
	v_cmp_ne_u32_e64 s2, v15, v22
	v_cmp_ne_u32_e64 s0, 0, v8
	v_lshl_or_b32 v21, v17, 12, v4
	s_wait_alu 0xf1ff
	s_delay_alu instid0(VALU_DEP_3) | instskip(NEXT) | instid1(VALU_DEP_3)
	v_cndmask_b32_e64 v15, 0, 1, s2
	v_cndmask_b32_e64 v8, 0, 1, s0
	v_cmp_gt_i32_e64 s0, 31, v14
	s_delay_alu instid0(VALU_DEP_3) | instskip(NEXT) | instid1(VALU_DEP_3)
	v_or_b32_e32 v15, v24, v15
	v_lshl_or_b32 v8, v8, 9, 0x7c00
	s_wait_alu 0xf1ff
	s_delay_alu instid0(VALU_DEP_3) | instskip(SKIP_4) | instid1(VALU_DEP_3)
	v_cndmask_b32_e64 v19, 0x7c00, v19, s0
	v_cmp_gt_i32_e64 s0, 1, v17
	v_and_or_b32 v0, 0x1ff, v1, v0
	v_mul_f64_e32 v[6:7], s[10:11], v[6:7]
	s_wait_alu 0xf1ff
	v_cndmask_b32_e64 v15, v21, v15, s0
	v_cmp_eq_u32_e64 s0, 0x40f, v14
	v_bfe_u32 v21, v1, 20, 11
	s_delay_alu instid0(VALU_DEP_3) | instskip(SKIP_1) | instid1(VALU_DEP_3)
	v_and_b32_e32 v14, 7, v15
	s_wait_alu 0xf1ff
	v_cndmask_b32_e64 v8, v19, v8, s0
	v_cmp_ne_u32_e64 s0, 0, v0
	v_lshrrev_b32_e32 v19, 8, v1
	v_lshrrev_b32_e32 v1, 16, v1
	v_cmp_eq_u32_e64 s1, 3, v14
	v_and_or_b32 v8, 0x8000, v9, v8
	v_and_b32_e32 v9, 0xffff, v20
	s_wait_alu 0xf1ff
	v_cndmask_b32_e64 v0, 0, 1, s0
	v_cmp_lt_i32_e64 s0, 5, v14
	v_and_or_b32 v12, 0x1ff, v13, v12
	v_lshrrev_b32_e32 v20, 8, v13
	v_lshl_or_b32 v8, v8, 16, v9
	v_lshrrev_b32_e32 v9, 2, v15
	v_and_or_b32 v0, 0xffe, v19, v0
	v_sub_nc_u32_e32 v19, 0x3f1, v21
	s_or_b32 s0, s1, s0
	v_bfe_u32 v22, v13, 20, 11
	s_wait_alu 0xfffe
	v_add_co_ci_u32_e64 v9, s0, 0, v9, s0
	v_or_b32_e32 v14, 0x1000, v0
	v_med3_i32 v15, v19, 0, 13
	v_cmp_ne_u32_e64 s0, 0, v4
	s_delay_alu instid0(VALU_DEP_2) | instskip(SKIP_1) | instid1(VALU_DEP_2)
	v_lshrrev_b32_e32 v19, v15, v14
	s_wait_alu 0xf1ff
	v_cndmask_b32_e64 v4, 0, 1, s0
	v_cmp_gt_i32_e64 s0, 31, v17
	s_delay_alu instid0(VALU_DEP_3) | instskip(NEXT) | instid1(VALU_DEP_3)
	v_lshlrev_b32_e32 v15, v15, v19
	v_lshl_or_b32 v4, v4, 9, 0x7c00
	s_wait_alu 0xf1ff
	s_delay_alu instid0(VALU_DEP_3) | instskip(SKIP_3) | instid1(VALU_DEP_2)
	v_cndmask_b32_e64 v9, 0x7c00, v9, s0
	v_cmp_ne_u32_e64 s0, 0, v12
	v_and_or_b32 v6, 0x1ff, v7, v6
	s_wait_alu 0xf1ff
	v_cndmask_b32_e64 v12, 0, 1, s0
	v_cmp_ne_u32_e64 s0, v15, v14
	v_add_nc_u32_e32 v15, 0xfffffc10, v21
	v_bfe_u32 v21, v7, 20, 11
	s_delay_alu instid0(VALU_DEP_4)
	v_and_or_b32 v12, 0xffe, v20, v12
	s_wait_alu 0xf1ff
	v_cndmask_b32_e64 v14, 0, 1, s0
	v_sub_nc_u32_e32 v20, 0x3f1, v22
	v_cmp_eq_u32_e64 s0, 0x40f, v17
	v_or_b32_e32 v17, 0x1000, v12
	s_wait_alu 0xf1ff
	s_delay_alu instid0(VALU_DEP_2)
	v_cndmask_b32_e64 v4, v9, v4, s0
	v_or_b32_e32 v9, v19, v14
	v_lshl_or_b32 v14, v15, 12, v0
	v_med3_i32 v19, v20, 0, 13
	v_cmp_gt_i32_e64 s0, 1, v15
	v_lshrrev_b32_e32 v20, 8, v7
	v_and_or_b32 v4, 0x8000, v5, v4
	v_lshrrev_b32_e32 v7, 16, v7
	s_wait_alu 0xf1ff
	v_cndmask_b32_e64 v9, v14, v9, s0
	v_lshrrev_b32_e32 v14, v19, v17
	v_cmp_ne_u32_e64 s0, 0, v6
	s_delay_alu instid0(VALU_DEP_3) | instskip(NEXT) | instid1(VALU_DEP_3)
	v_and_b32_e32 v23, 7, v9
	v_lshlrev_b32_e32 v19, v19, v14
	s_wait_alu 0xf1ff
	s_delay_alu instid0(VALU_DEP_3) | instskip(SKIP_3) | instid1(VALU_DEP_4)
	v_cndmask_b32_e64 v6, 0, 1, s0
	v_lshrrev_b32_e32 v9, 2, v9
	v_cmp_lt_i32_e64 s0, 5, v23
	v_cmp_ne_u32_e64 s1, v19, v17
	v_and_or_b32 v5, 0xffe, v20, v6
	v_sub_nc_u32_e32 v6, 0x3f1, v21
	v_add_nc_u32_e32 v20, 0xfffffc10, v22
	s_wait_alu 0xf1ff
	v_cndmask_b32_e64 v17, 0, 1, s1
	v_cmp_eq_u32_e64 s1, 3, v23
	v_or_b32_e32 v19, 0x1000, v5
	v_med3_i32 v6, v6, 0, 13
	v_lshl_or_b32 v22, v20, 12, v12
	v_or_b32_e32 v14, v14, v17
	s_or_b32 s0, s1, s0
	s_wait_alu 0xfffe
	v_add_co_ci_u32_e64 v9, s0, 0, v9, s0
	v_lshrrev_b32_e32 v17, v6, v19
	v_cmp_gt_i32_e64 s0, 1, v20
	s_delay_alu instid0(VALU_DEP_2) | instskip(SKIP_1) | instid1(VALU_DEP_2)
	v_lshlrev_b32_e32 v6, v6, v17
	s_wait_alu 0xf1ff
	v_cndmask_b32_e64 v14, v22, v14, s0
	v_cmp_ne_u32_e64 s0, 0, v0
	s_wait_alu 0xf1ff
	s_delay_alu instid0(VALU_DEP_1) | instskip(SKIP_3) | instid1(VALU_DEP_4)
	v_cndmask_b32_e64 v0, 0, 1, s0
	v_cmp_ne_u32_e64 s0, v6, v19
	v_add_nc_u32_e32 v19, 0xfffffc10, v21
	v_and_b32_e32 v21, 7, v14
	v_lshl_or_b32 v0, v0, 9, 0x7c00
	s_wait_alu 0xf1ff
	v_cndmask_b32_e64 v6, 0, 1, s0
	v_cmp_gt_i32_e64 s0, 31, v15
	v_cmp_gt_i32_e64 s2, 1, v19
	v_cmp_eq_u32_e64 s1, 3, v21
	s_delay_alu instid0(VALU_DEP_4) | instskip(SKIP_4) | instid1(VALU_DEP_3)
	v_or_b32_e32 v6, v17, v6
	v_lshl_or_b32 v17, v19, 12, v5
	s_wait_alu 0xf1ff
	v_cndmask_b32_e64 v9, 0x7c00, v9, s0
	v_cmp_lt_i32_e64 s0, 5, v21
	v_cndmask_b32_e64 v6, v17, v6, s2
	v_cmp_eq_u32_e64 s2, 0x40f, v15
	s_delay_alu instid0(VALU_DEP_3) | instskip(NEXT) | instid1(VALU_DEP_1)
	s_or_b32 s0, s1, s0
	v_cndmask_b32_e64 v0, v9, v0, s2
	v_lshrrev_b32_e32 v9, 2, v14
	v_and_b32_e32 v14, 7, v6
	v_lshrrev_b32_e32 v6, 2, v6
	v_cmp_gt_i32_e64 s2, 31, v20
	v_and_or_b32 v0, 0x8000, v1, v0
	s_wait_alu 0xfffe
	v_add_co_ci_u32_e64 v9, s0, 0, v9, s0
	v_cmp_ne_u32_e64 s0, 0, v12
	v_cmp_eq_u32_e64 s1, 3, v14
	v_and_b32_e32 v1, 0xffff, v4
	s_wait_alu 0xf1ff
	v_cndmask_b32_e64 v9, 0x7c00, v9, s2
	v_cndmask_b32_e64 v12, 0, 1, s0
	v_cmp_lt_i32_e64 s0, 5, v14
	s_delay_alu instid0(VALU_DEP_2) | instskip(NEXT) | instid1(VALU_DEP_2)
	v_lshl_or_b32 v12, v12, 9, 0x7c00
	s_or_b32 s0, s1, s0
	s_wait_alu 0xfffe
	v_add_co_ci_u32_e64 v6, s0, 0, v6, s0
	v_cmp_ne_u32_e64 s0, 0, v5
	s_wait_alu 0xf1ff
	s_delay_alu instid0(VALU_DEP_1) | instskip(SKIP_1) | instid1(VALU_DEP_2)
	v_cndmask_b32_e64 v5, 0, 1, s0
	v_cmp_eq_u32_e64 s0, 0x40f, v20
	v_lshl_or_b32 v5, v5, 9, 0x7c00
	s_wait_alu 0xf1ff
	s_delay_alu instid0(VALU_DEP_2) | instskip(SKIP_3) | instid1(VALU_DEP_2)
	v_cndmask_b32_e64 v9, v9, v12, s0
	v_cmp_gt_i32_e64 s0, 31, v19
	v_lshrrev_b32_e32 v12, 16, v13
	s_wait_alu 0xf1ff
	v_cndmask_b32_e64 v6, 0x7c00, v6, s0
	v_cmp_eq_u32_e64 s0, 0x40f, v19
	s_delay_alu instid0(VALU_DEP_3) | instskip(SKIP_2) | instid1(VALU_DEP_3)
	v_and_or_b32 v9, 0x8000, v12, v9
	v_lshl_or_b32 v12, v0, 16, v1
	s_wait_alu 0xf1ff
	v_cndmask_b32_e64 v6, v6, v5, s0
	v_add_co_u32 v4, s0, v2, s6
	s_wait_alu 0xf1ff
	v_add_co_ci_u32_e64 v5, s0, s7, v3, s0
	s_delay_alu instid0(VALU_DEP_3) | instskip(SKIP_4) | instid1(VALU_DEP_3)
	v_and_or_b32 v0, 0x8000, v7, v6
	v_and_b32_e32 v1, 0xffff, v9
	v_add_co_u32 v6, s0, v4, s8
	s_wait_alu 0xf1ff
	v_add_co_ci_u32_e64 v7, s0, s9, v5, s0
	v_lshl_or_b32 v9, v0, 16, v1
	s_delay_alu instid0(VALU_DEP_3) | instskip(SKIP_1) | instid1(VALU_DEP_3)
	v_add_co_u32 v0, s0, v6, s6
	s_wait_alu 0xf1ff
	v_add_co_ci_u32_e64 v1, s0, s7, v7, s0
	global_store_b32 v[10:11], v18, off
	global_store_b32 v[2:3], v16, off
	;; [unrolled: 1-line block ×5, first 2 shown]
	s_and_b32 exec_lo, exec_lo, vcc_lo
	s_cbranch_execz .LBB0_39
; %bb.38:
	global_load_b32 v2, v[40:41], off offset:2688
	ds_load_b32 v3, v77 offset:2688
	ds_load_b32 v6, v77 offset:5488
	s_wait_dscnt 0x1
	v_lshrrev_b32_e32 v4, 16, v3
	s_wait_loadcnt 0x0
	v_lshrrev_b32_e32 v5, 16, v2
	s_delay_alu instid0(VALU_DEP_1) | instskip(SKIP_1) | instid1(VALU_DEP_2)
	v_mul_f16_e32 v7, v4, v5
	v_mul_f16_e32 v5, v3, v5
	v_fmac_f16_e32 v7, v3, v2
	s_delay_alu instid0(VALU_DEP_2) | instskip(NEXT) | instid1(VALU_DEP_2)
	v_fma_f16 v2, v2, v4, -v5
	v_cvt_f32_f16_e32 v3, v7
	s_delay_alu instid0(VALU_DEP_2) | instskip(NEXT) | instid1(VALU_DEP_2)
	v_cvt_f32_f16_e32 v4, v2
	v_cvt_f64_f32_e32 v[2:3], v3
	s_delay_alu instid0(VALU_DEP_2) | instskip(NEXT) | instid1(VALU_DEP_2)
	v_cvt_f64_f32_e32 v[4:5], v4
	v_mul_f64_e32 v[2:3], s[10:11], v[2:3]
	s_delay_alu instid0(VALU_DEP_2) | instskip(NEXT) | instid1(VALU_DEP_2)
	v_mul_f64_e32 v[4:5], s[10:11], v[4:5]
	v_and_or_b32 v2, 0x1ff, v3, v2
	s_delay_alu instid0(VALU_DEP_2)
	v_and_or_b32 v4, 0x1ff, v5, v4
	v_lshrrev_b32_e32 v7, 8, v3
	v_bfe_u32 v8, v3, 20, 11
	v_lshrrev_b32_e32 v9, 8, v5
	v_cmp_ne_u32_e32 vcc_lo, 0, v2
	v_bfe_u32 v10, v5, 20, 11
	v_lshrrev_b32_e32 v3, 16, v3
	v_sub_nc_u32_e32 v11, 0x3f1, v8
	v_lshrrev_b32_e32 v5, 16, v5
	s_wait_alu 0xfffd
	v_cndmask_b32_e64 v2, 0, 1, vcc_lo
	v_cmp_ne_u32_e32 vcc_lo, 0, v4
	s_delay_alu instid0(VALU_DEP_2) | instskip(SKIP_3) | instid1(VALU_DEP_2)
	v_and_or_b32 v2, 0xffe, v7, v2
	s_wait_alu 0xfffd
	v_cndmask_b32_e64 v4, 0, 1, vcc_lo
	v_sub_nc_u32_e32 v7, 0x3f1, v10
	v_and_or_b32 v4, 0xffe, v9, v4
	v_med3_i32 v9, v11, 0, 13
	v_or_b32_e32 v11, 0x1000, v2
	s_delay_alu instid0(VALU_DEP_4) | instskip(NEXT) | instid1(VALU_DEP_4)
	v_med3_i32 v7, v7, 0, 13
	v_or_b32_e32 v12, 0x1000, v4
	s_delay_alu instid0(VALU_DEP_3) | instskip(NEXT) | instid1(VALU_DEP_2)
	v_lshrrev_b32_e32 v13, v9, v11
	v_lshrrev_b32_e32 v14, v7, v12
	s_delay_alu instid0(VALU_DEP_2) | instskip(NEXT) | instid1(VALU_DEP_2)
	v_lshlrev_b32_e32 v9, v9, v13
	v_lshlrev_b32_e32 v7, v7, v14
	s_delay_alu instid0(VALU_DEP_2) | instskip(SKIP_2) | instid1(VALU_DEP_3)
	v_cmp_ne_u32_e32 vcc_lo, v9, v11
	s_wait_alu 0xfffd
	v_cndmask_b32_e64 v9, 0, 1, vcc_lo
	v_cmp_ne_u32_e32 vcc_lo, v7, v12
	s_delay_alu instid0(VALU_DEP_2) | instskip(SKIP_3) | instid1(VALU_DEP_2)
	v_or_b32_e32 v9, v13, v9
	v_add_nc_u32_e32 v8, 0xfffffc10, v8
	s_wait_alu 0xfffd
	v_cndmask_b32_e64 v7, 0, 1, vcc_lo
	v_lshl_or_b32 v11, v8, 12, v2
	s_delay_alu instid0(VALU_DEP_2) | instskip(SKIP_2) | instid1(VALU_DEP_2)
	v_or_b32_e32 v7, v14, v7
	v_add_nc_u32_e32 v10, 0xfffffc10, v10
	v_cmp_gt_i32_e32 vcc_lo, 1, v8
	v_lshl_or_b32 v12, v10, 12, v4
	s_wait_alu 0xfffd
	v_cndmask_b32_e32 v9, v11, v9, vcc_lo
	v_cmp_gt_i32_e32 vcc_lo, 1, v10
	s_wait_alu 0xfffd
	v_cndmask_b32_e32 v7, v12, v7, vcc_lo
	v_cmp_ne_u32_e32 vcc_lo, 0, v2
	s_wait_alu 0xfffd
	v_cndmask_b32_e64 v2, 0, 1, vcc_lo
	v_cmp_ne_u32_e32 vcc_lo, 0, v4
	s_delay_alu instid0(VALU_DEP_2) | instskip(SKIP_4) | instid1(VALU_DEP_3)
	v_lshl_or_b32 v2, v2, 9, 0x7c00
	v_and_b32_e32 v11, 7, v9
	s_wait_alu 0xfffd
	v_cndmask_b32_e64 v4, 0, 1, vcc_lo
	v_lshrrev_b32_e32 v9, 2, v9
	v_cmp_lt_i32_e32 vcc_lo, 5, v11
	v_cmp_eq_u32_e64 s0, 3, v11
	s_delay_alu instid0(VALU_DEP_4) | instskip(NEXT) | instid1(VALU_DEP_2)
	v_lshl_or_b32 v4, v4, 9, 0x7c00
	s_or_b32 vcc_lo, s0, vcc_lo
	s_wait_alu 0xfffe
	v_add_co_ci_u32_e32 v9, vcc_lo, 0, v9, vcc_lo
	v_and_b32_e32 v12, 7, v7
	v_lshrrev_b32_e32 v7, 2, v7
	s_delay_alu instid0(VALU_DEP_2) | instskip(SKIP_1) | instid1(VALU_DEP_1)
	v_cmp_lt_i32_e64 s1, 5, v12
	v_cmp_eq_u32_e64 s2, 3, v12
	s_or_b32 vcc_lo, s2, s1
	s_wait_alu 0xfffe
	v_add_co_ci_u32_e32 v7, vcc_lo, 0, v7, vcc_lo
	v_cmp_gt_i32_e32 vcc_lo, 31, v8
	s_wait_alu 0xfffd
	v_cndmask_b32_e32 v9, 0x7c00, v9, vcc_lo
	v_cmp_gt_i32_e32 vcc_lo, 31, v10
	s_wait_alu 0xfffd
	v_cndmask_b32_e32 v7, 0x7c00, v7, vcc_lo
	v_cmp_eq_u32_e32 vcc_lo, 0x40f, v8
	s_wait_alu 0xfffd
	v_cndmask_b32_e32 v2, v9, v2, vcc_lo
	v_cmp_eq_u32_e32 vcc_lo, 0x40f, v10
	s_delay_alu instid0(VALU_DEP_2)
	v_and_or_b32 v2, 0x8000, v3, v2
	s_wait_alu 0xfffd
	v_cndmask_b32_e32 v4, v7, v4, vcc_lo
	v_add_co_u32 v0, vcc_lo, v0, s8
	s_wait_alu 0xfffd
	v_add_co_ci_u32_e32 v1, vcc_lo, s9, v1, vcc_lo
	s_delay_alu instid0(VALU_DEP_3) | instskip(SKIP_1) | instid1(VALU_DEP_1)
	v_and_or_b32 v3, 0x8000, v5, v4
	v_and_b32_e32 v2, 0xffff, v2
	v_lshl_or_b32 v2, v3, 16, v2
	s_wait_dscnt 0x0
	v_lshrrev_b32_e32 v3, 16, v6
	global_store_b32 v[0:1], v2, off
	global_load_b32 v2, v[40:41], off offset:5488
	s_wait_loadcnt 0x0
	v_lshrrev_b32_e32 v4, 16, v2
	s_delay_alu instid0(VALU_DEP_1) | instskip(SKIP_1) | instid1(VALU_DEP_2)
	v_mul_f16_e32 v5, v3, v4
	v_mul_f16_e32 v4, v6, v4
	v_fmac_f16_e32 v5, v6, v2
	s_delay_alu instid0(VALU_DEP_2) | instskip(NEXT) | instid1(VALU_DEP_2)
	v_fma_f16 v2, v2, v3, -v4
	v_cvt_f32_f16_e32 v3, v5
	s_delay_alu instid0(VALU_DEP_2) | instskip(NEXT) | instid1(VALU_DEP_2)
	v_cvt_f32_f16_e32 v4, v2
	v_cvt_f64_f32_e32 v[2:3], v3
	s_delay_alu instid0(VALU_DEP_2) | instskip(NEXT) | instid1(VALU_DEP_2)
	v_cvt_f64_f32_e32 v[4:5], v4
	v_mul_f64_e32 v[2:3], s[10:11], v[2:3]
	s_delay_alu instid0(VALU_DEP_2) | instskip(NEXT) | instid1(VALU_DEP_2)
	v_mul_f64_e32 v[4:5], s[10:11], v[4:5]
	v_and_or_b32 v2, 0x1ff, v3, v2
	s_delay_alu instid0(VALU_DEP_2)
	v_and_or_b32 v4, 0x1ff, v5, v4
	v_lshrrev_b32_e32 v6, 8, v3
	v_bfe_u32 v7, v3, 20, 11
	v_lshrrev_b32_e32 v8, 8, v5
	v_cmp_ne_u32_e32 vcc_lo, 0, v2
	v_bfe_u32 v9, v5, 20, 11
	v_lshrrev_b32_e32 v3, 16, v3
	v_sub_nc_u32_e32 v10, 0x3f1, v7
	v_lshrrev_b32_e32 v5, 16, v5
	s_wait_alu 0xfffd
	v_cndmask_b32_e64 v2, 0, 1, vcc_lo
	v_cmp_ne_u32_e32 vcc_lo, 0, v4
	s_delay_alu instid0(VALU_DEP_2) | instskip(SKIP_4) | instid1(VALU_DEP_3)
	v_and_or_b32 v2, 0xffe, v6, v2
	s_wait_alu 0xfffd
	v_cndmask_b32_e64 v4, 0, 1, vcc_lo
	v_sub_nc_u32_e32 v6, 0x3f1, v9
	v_add_nc_u32_e32 v9, 0xfffffc10, v9
	v_and_or_b32 v4, 0xffe, v8, v4
	v_med3_i32 v8, v10, 0, 13
	v_or_b32_e32 v10, 0x1000, v2
	v_med3_i32 v6, v6, 0, 13
	s_delay_alu instid0(VALU_DEP_4) | instskip(NEXT) | instid1(VALU_DEP_3)
	v_or_b32_e32 v11, 0x1000, v4
	v_lshrrev_b32_e32 v12, v8, v10
	s_delay_alu instid0(VALU_DEP_2) | instskip(NEXT) | instid1(VALU_DEP_2)
	v_lshrrev_b32_e32 v13, v6, v11
	v_lshlrev_b32_e32 v8, v8, v12
	s_delay_alu instid0(VALU_DEP_2) | instskip(NEXT) | instid1(VALU_DEP_2)
	v_lshlrev_b32_e32 v6, v6, v13
	v_cmp_ne_u32_e32 vcc_lo, v8, v10
	s_wait_alu 0xfffd
	v_cndmask_b32_e64 v8, 0, 1, vcc_lo
	s_delay_alu instid0(VALU_DEP_3) | instskip(SKIP_1) | instid1(VALU_DEP_3)
	v_cmp_ne_u32_e32 vcc_lo, v6, v11
	v_lshl_or_b32 v11, v9, 12, v4
	v_or_b32_e32 v8, v12, v8
	s_wait_alu 0xfffd
	v_cndmask_b32_e64 v6, 0, 1, vcc_lo
	s_delay_alu instid0(VALU_DEP_1) | instskip(SKIP_1) | instid1(VALU_DEP_1)
	v_or_b32_e32 v6, v13, v6
	v_add_nc_u32_e32 v7, 0xfffffc10, v7
	v_lshl_or_b32 v10, v7, 12, v2
	v_cmp_gt_i32_e32 vcc_lo, 1, v7
	s_wait_alu 0xfffd
	s_delay_alu instid0(VALU_DEP_2) | instskip(SKIP_1) | instid1(VALU_DEP_2)
	v_cndmask_b32_e32 v8, v10, v8, vcc_lo
	v_cmp_gt_i32_e32 vcc_lo, 1, v9
	v_and_b32_e32 v10, 7, v8
	s_wait_alu 0xfffd
	v_cndmask_b32_e32 v6, v11, v6, vcc_lo
	v_cmp_ne_u32_e32 vcc_lo, 0, v2
	v_lshrrev_b32_e32 v8, 2, v8
	v_cmp_eq_u32_e64 s0, 3, v10
	s_wait_alu 0xfffd
	v_cndmask_b32_e64 v2, 0, 1, vcc_lo
	v_cmp_ne_u32_e32 vcc_lo, 0, v4
	s_delay_alu instid0(VALU_DEP_2) | instskip(SKIP_3) | instid1(VALU_DEP_2)
	v_lshl_or_b32 v2, v2, 9, 0x7c00
	s_wait_alu 0xfffd
	v_cndmask_b32_e64 v4, 0, 1, vcc_lo
	v_cmp_lt_i32_e32 vcc_lo, 5, v10
	v_lshl_or_b32 v4, v4, 9, 0x7c00
	s_or_b32 vcc_lo, s0, vcc_lo
	s_wait_alu 0xfffe
	v_add_co_ci_u32_e32 v8, vcc_lo, 0, v8, vcc_lo
	v_and_b32_e32 v11, 7, v6
	v_lshrrev_b32_e32 v6, 2, v6
	s_delay_alu instid0(VALU_DEP_2) | instskip(SKIP_1) | instid1(VALU_DEP_1)
	v_cmp_lt_i32_e64 s1, 5, v11
	v_cmp_eq_u32_e64 s2, 3, v11
	s_or_b32 vcc_lo, s2, s1
	s_wait_alu 0xfffe
	v_add_co_ci_u32_e32 v6, vcc_lo, 0, v6, vcc_lo
	v_cmp_gt_i32_e32 vcc_lo, 31, v7
	s_wait_alu 0xfffd
	v_cndmask_b32_e32 v8, 0x7c00, v8, vcc_lo
	v_cmp_gt_i32_e32 vcc_lo, 31, v9
	s_wait_alu 0xfffd
	v_cndmask_b32_e32 v6, 0x7c00, v6, vcc_lo
	v_cmp_eq_u32_e32 vcc_lo, 0x40f, v7
	s_wait_alu 0xfffd
	v_cndmask_b32_e32 v2, v8, v2, vcc_lo
	v_cmp_eq_u32_e32 vcc_lo, 0x40f, v9
	s_delay_alu instid0(VALU_DEP_2)
	v_and_or_b32 v2, 0x8000, v3, v2
	s_wait_alu 0xfffd
	v_cndmask_b32_e32 v4, v6, v4, vcc_lo
	v_add_co_u32 v0, vcc_lo, v0, s6
	s_wait_alu 0xfffd
	v_add_co_ci_u32_e32 v1, vcc_lo, s7, v1, vcc_lo
	s_delay_alu instid0(VALU_DEP_3) | instskip(SKIP_1) | instid1(VALU_DEP_1)
	v_and_or_b32 v3, 0x8000, v5, v4
	v_and_b32_e32 v2, 0xffff, v2
	v_lshl_or_b32 v2, v3, 16, v2
	global_store_b32 v[0:1], v2, off
.LBB0_39:
	s_nop 0
	s_sendmsg sendmsg(MSG_DEALLOC_VGPRS)
	s_endpgm
	.section	.rodata,"a",@progbits
	.p2align	6, 0x0
	.amdhsa_kernel bluestein_single_back_len1400_dim1_half_op_CI_CI
		.amdhsa_group_segment_fixed_size 5600
		.amdhsa_private_segment_fixed_size 8
		.amdhsa_kernarg_size 104
		.amdhsa_user_sgpr_count 2
		.amdhsa_user_sgpr_dispatch_ptr 0
		.amdhsa_user_sgpr_queue_ptr 0
		.amdhsa_user_sgpr_kernarg_segment_ptr 1
		.amdhsa_user_sgpr_dispatch_id 0
		.amdhsa_user_sgpr_private_segment_size 0
		.amdhsa_wavefront_size32 1
		.amdhsa_uses_dynamic_stack 0
		.amdhsa_enable_private_segment 1
		.amdhsa_system_sgpr_workgroup_id_x 1
		.amdhsa_system_sgpr_workgroup_id_y 0
		.amdhsa_system_sgpr_workgroup_id_z 0
		.amdhsa_system_sgpr_workgroup_info 0
		.amdhsa_system_vgpr_workitem_id 0
		.amdhsa_next_free_vgpr 256
		.amdhsa_next_free_sgpr 16
		.amdhsa_reserve_vcc 1
		.amdhsa_float_round_mode_32 0
		.amdhsa_float_round_mode_16_64 0
		.amdhsa_float_denorm_mode_32 3
		.amdhsa_float_denorm_mode_16_64 3
		.amdhsa_fp16_overflow 0
		.amdhsa_workgroup_processor_mode 1
		.amdhsa_memory_ordered 1
		.amdhsa_forward_progress 0
		.amdhsa_round_robin_scheduling 0
		.amdhsa_exception_fp_ieee_invalid_op 0
		.amdhsa_exception_fp_denorm_src 0
		.amdhsa_exception_fp_ieee_div_zero 0
		.amdhsa_exception_fp_ieee_overflow 0
		.amdhsa_exception_fp_ieee_underflow 0
		.amdhsa_exception_fp_ieee_inexact 0
		.amdhsa_exception_int_div_zero 0
	.end_amdhsa_kernel
	.text
.Lfunc_end0:
	.size	bluestein_single_back_len1400_dim1_half_op_CI_CI, .Lfunc_end0-bluestein_single_back_len1400_dim1_half_op_CI_CI
                                        ; -- End function
	.section	.AMDGPU.csdata,"",@progbits
; Kernel info:
; codeLenInByte = 52640
; NumSgprs: 18
; NumVgprs: 256
; ScratchSize: 8
; MemoryBound: 0
; FloatMode: 240
; IeeeMode: 1
; LDSByteSize: 5600 bytes/workgroup (compile time only)
; SGPRBlocks: 2
; VGPRBlocks: 31
; NumSGPRsForWavesPerEU: 18
; NumVGPRsForWavesPerEU: 256
; Occupancy: 5
; WaveLimiterHint : 1
; COMPUTE_PGM_RSRC2:SCRATCH_EN: 1
; COMPUTE_PGM_RSRC2:USER_SGPR: 2
; COMPUTE_PGM_RSRC2:TRAP_HANDLER: 0
; COMPUTE_PGM_RSRC2:TGID_X_EN: 1
; COMPUTE_PGM_RSRC2:TGID_Y_EN: 0
; COMPUTE_PGM_RSRC2:TGID_Z_EN: 0
; COMPUTE_PGM_RSRC2:TIDIG_COMP_CNT: 0
	.text
	.p2alignl 7, 3214868480
	.fill 96, 4, 3214868480
	.type	__hip_cuid_9f830e0ab7776854,@object ; @__hip_cuid_9f830e0ab7776854
	.section	.bss,"aw",@nobits
	.globl	__hip_cuid_9f830e0ab7776854
__hip_cuid_9f830e0ab7776854:
	.byte	0                               ; 0x0
	.size	__hip_cuid_9f830e0ab7776854, 1

	.ident	"AMD clang version 19.0.0git (https://github.com/RadeonOpenCompute/llvm-project roc-6.4.0 25133 c7fe45cf4b819c5991fe208aaa96edf142730f1d)"
	.section	".note.GNU-stack","",@progbits
	.addrsig
	.addrsig_sym __hip_cuid_9f830e0ab7776854
	.amdgpu_metadata
---
amdhsa.kernels:
  - .args:
      - .actual_access:  read_only
        .address_space:  global
        .offset:         0
        .size:           8
        .value_kind:     global_buffer
      - .actual_access:  read_only
        .address_space:  global
        .offset:         8
        .size:           8
        .value_kind:     global_buffer
      - .actual_access:  read_only
        .address_space:  global
        .offset:         16
        .size:           8
        .value_kind:     global_buffer
      - .actual_access:  read_only
        .address_space:  global
        .offset:         24
        .size:           8
        .value_kind:     global_buffer
      - .actual_access:  read_only
        .address_space:  global
        .offset:         32
        .size:           8
        .value_kind:     global_buffer
      - .offset:         40
        .size:           8
        .value_kind:     by_value
      - .address_space:  global
        .offset:         48
        .size:           8
        .value_kind:     global_buffer
      - .address_space:  global
        .offset:         56
        .size:           8
        .value_kind:     global_buffer
      - .address_space:  global
        .offset:         64
        .size:           8
        .value_kind:     global_buffer
      - .address_space:  global
        .offset:         72
        .size:           8
        .value_kind:     global_buffer
      - .offset:         80
        .size:           4
        .value_kind:     by_value
      - .address_space:  global
        .offset:         88
        .size:           8
        .value_kind:     global_buffer
      - .address_space:  global
        .offset:         96
        .size:           8
        .value_kind:     global_buffer
    .group_segment_fixed_size: 5600
    .kernarg_segment_align: 8
    .kernarg_segment_size: 104
    .language:       OpenCL C
    .language_version:
      - 2
      - 0
    .max_flat_workgroup_size: 56
    .name:           bluestein_single_back_len1400_dim1_half_op_CI_CI
    .private_segment_fixed_size: 8
    .sgpr_count:     18
    .sgpr_spill_count: 0
    .symbol:         bluestein_single_back_len1400_dim1_half_op_CI_CI.kd
    .uniform_work_group_size: 1
    .uses_dynamic_stack: false
    .vgpr_count:     256
    .vgpr_spill_count: 1
    .wavefront_size: 32
    .workgroup_processor_mode: 1
amdhsa.target:   amdgcn-amd-amdhsa--gfx1201
amdhsa.version:
  - 1
  - 2
...

	.end_amdgpu_metadata
